;; amdgpu-corpus repo=ROCm/rocSOLVER kind=compiled arch=gfx1250 opt=O3
	.amdgcn_target "amdgcn-amd-amdhsa--gfx1250"
	.amdhsa_code_object_version 6
	.section	.text._ZN9rocsolver6v33100L16mfma_gemm_kernelIdiPKdPdS4_S4_EEv18rocblas_operation_S5_T0_S6_S6_T1_T2_lS6_S6_lT3_lS6_S6_lS7_T4_lS6_S6_l,"axG",@progbits,_ZN9rocsolver6v33100L16mfma_gemm_kernelIdiPKdPdS4_S4_EEv18rocblas_operation_S5_T0_S6_S6_T1_T2_lS6_S6_lT3_lS6_S6_lS7_T4_lS6_S6_l,comdat
	.globl	_ZN9rocsolver6v33100L16mfma_gemm_kernelIdiPKdPdS4_S4_EEv18rocblas_operation_S5_T0_S6_S6_T1_T2_lS6_S6_lT3_lS6_S6_lS7_T4_lS6_S6_l ; -- Begin function _ZN9rocsolver6v33100L16mfma_gemm_kernelIdiPKdPdS4_S4_EEv18rocblas_operation_S5_T0_S6_S6_T1_T2_lS6_S6_lT3_lS6_S6_lS7_T4_lS6_S6_l
	.p2align	8
	.type	_ZN9rocsolver6v33100L16mfma_gemm_kernelIdiPKdPdS4_S4_EEv18rocblas_operation_S5_T0_S6_S6_T1_T2_lS6_S6_lT3_lS6_S6_lS7_T4_lS6_S6_l,@function
_ZN9rocsolver6v33100L16mfma_gemm_kernelIdiPKdPdS4_S4_EEv18rocblas_operation_S5_T0_S6_S6_T1_T2_lS6_S6_lT3_lS6_S6_lS7_T4_lS6_S6_l: ; @_ZN9rocsolver6v33100L16mfma_gemm_kernelIdiPKdPdS4_S4_EEv18rocblas_operation_S5_T0_S6_S6_T1_T2_lS6_S6_lT3_lS6_S6_lS7_T4_lS6_S6_l
; %bb.0:
	s_endpgm
	.section	.rodata,"a",@progbits
	.p2align	6, 0x0
	.amdhsa_kernel _ZN9rocsolver6v33100L16mfma_gemm_kernelIdiPKdPdS4_S4_EEv18rocblas_operation_S5_T0_S6_S6_T1_T2_lS6_S6_lT3_lS6_S6_lS7_T4_lS6_S6_l
		.amdhsa_group_segment_fixed_size 0
		.amdhsa_private_segment_fixed_size 0
		.amdhsa_kernarg_size 136
		.amdhsa_user_sgpr_count 2
		.amdhsa_user_sgpr_dispatch_ptr 0
		.amdhsa_user_sgpr_queue_ptr 0
		.amdhsa_user_sgpr_kernarg_segment_ptr 1
		.amdhsa_user_sgpr_dispatch_id 0
		.amdhsa_user_sgpr_kernarg_preload_length 0
		.amdhsa_user_sgpr_kernarg_preload_offset 0
		.amdhsa_user_sgpr_private_segment_size 0
		.amdhsa_wavefront_size32 1
		.amdhsa_uses_dynamic_stack 0
		.amdhsa_enable_private_segment 0
		.amdhsa_system_sgpr_workgroup_id_x 1
		.amdhsa_system_sgpr_workgroup_id_y 0
		.amdhsa_system_sgpr_workgroup_id_z 0
		.amdhsa_system_sgpr_workgroup_info 0
		.amdhsa_system_vgpr_workitem_id 0
		.amdhsa_next_free_vgpr 1
		.amdhsa_next_free_sgpr 1
		.amdhsa_named_barrier_count 0
		.amdhsa_reserve_vcc 0
		.amdhsa_float_round_mode_32 0
		.amdhsa_float_round_mode_16_64 0
		.amdhsa_float_denorm_mode_32 3
		.amdhsa_float_denorm_mode_16_64 3
		.amdhsa_fp16_overflow 0
		.amdhsa_memory_ordered 1
		.amdhsa_forward_progress 1
		.amdhsa_inst_pref_size 1
		.amdhsa_round_robin_scheduling 0
		.amdhsa_exception_fp_ieee_invalid_op 0
		.amdhsa_exception_fp_denorm_src 0
		.amdhsa_exception_fp_ieee_div_zero 0
		.amdhsa_exception_fp_ieee_overflow 0
		.amdhsa_exception_fp_ieee_underflow 0
		.amdhsa_exception_fp_ieee_inexact 0
		.amdhsa_exception_int_div_zero 0
	.end_amdhsa_kernel
	.section	.text._ZN9rocsolver6v33100L16mfma_gemm_kernelIdiPKdPdS4_S4_EEv18rocblas_operation_S5_T0_S6_S6_T1_T2_lS6_S6_lT3_lS6_S6_lS7_T4_lS6_S6_l,"axG",@progbits,_ZN9rocsolver6v33100L16mfma_gemm_kernelIdiPKdPdS4_S4_EEv18rocblas_operation_S5_T0_S6_S6_T1_T2_lS6_S6_lT3_lS6_S6_lS7_T4_lS6_S6_l,comdat
.Lfunc_end0:
	.size	_ZN9rocsolver6v33100L16mfma_gemm_kernelIdiPKdPdS4_S4_EEv18rocblas_operation_S5_T0_S6_S6_T1_T2_lS6_S6_lT3_lS6_S6_lS7_T4_lS6_S6_l, .Lfunc_end0-_ZN9rocsolver6v33100L16mfma_gemm_kernelIdiPKdPdS4_S4_EEv18rocblas_operation_S5_T0_S6_S6_T1_T2_lS6_S6_lT3_lS6_S6_lS7_T4_lS6_S6_l
                                        ; -- End function
	.set _ZN9rocsolver6v33100L16mfma_gemm_kernelIdiPKdPdS4_S4_EEv18rocblas_operation_S5_T0_S6_S6_T1_T2_lS6_S6_lT3_lS6_S6_lS7_T4_lS6_S6_l.num_vgpr, 0
	.set _ZN9rocsolver6v33100L16mfma_gemm_kernelIdiPKdPdS4_S4_EEv18rocblas_operation_S5_T0_S6_S6_T1_T2_lS6_S6_lT3_lS6_S6_lS7_T4_lS6_S6_l.num_agpr, 0
	.set _ZN9rocsolver6v33100L16mfma_gemm_kernelIdiPKdPdS4_S4_EEv18rocblas_operation_S5_T0_S6_S6_T1_T2_lS6_S6_lT3_lS6_S6_lS7_T4_lS6_S6_l.numbered_sgpr, 0
	.set _ZN9rocsolver6v33100L16mfma_gemm_kernelIdiPKdPdS4_S4_EEv18rocblas_operation_S5_T0_S6_S6_T1_T2_lS6_S6_lT3_lS6_S6_lS7_T4_lS6_S6_l.num_named_barrier, 0
	.set _ZN9rocsolver6v33100L16mfma_gemm_kernelIdiPKdPdS4_S4_EEv18rocblas_operation_S5_T0_S6_S6_T1_T2_lS6_S6_lT3_lS6_S6_lS7_T4_lS6_S6_l.private_seg_size, 0
	.set _ZN9rocsolver6v33100L16mfma_gemm_kernelIdiPKdPdS4_S4_EEv18rocblas_operation_S5_T0_S6_S6_T1_T2_lS6_S6_lT3_lS6_S6_lS7_T4_lS6_S6_l.uses_vcc, 0
	.set _ZN9rocsolver6v33100L16mfma_gemm_kernelIdiPKdPdS4_S4_EEv18rocblas_operation_S5_T0_S6_S6_T1_T2_lS6_S6_lT3_lS6_S6_lS7_T4_lS6_S6_l.uses_flat_scratch, 0
	.set _ZN9rocsolver6v33100L16mfma_gemm_kernelIdiPKdPdS4_S4_EEv18rocblas_operation_S5_T0_S6_S6_T1_T2_lS6_S6_lT3_lS6_S6_lS7_T4_lS6_S6_l.has_dyn_sized_stack, 0
	.set _ZN9rocsolver6v33100L16mfma_gemm_kernelIdiPKdPdS4_S4_EEv18rocblas_operation_S5_T0_S6_S6_T1_T2_lS6_S6_lT3_lS6_S6_lS7_T4_lS6_S6_l.has_recursion, 0
	.set _ZN9rocsolver6v33100L16mfma_gemm_kernelIdiPKdPdS4_S4_EEv18rocblas_operation_S5_T0_S6_S6_T1_T2_lS6_S6_lT3_lS6_S6_lS7_T4_lS6_S6_l.has_indirect_call, 0
	.section	.AMDGPU.csdata,"",@progbits
; Kernel info:
; codeLenInByte = 4
; TotalNumSgprs: 0
; NumVgprs: 0
; ScratchSize: 0
; MemoryBound: 0
; FloatMode: 240
; IeeeMode: 1
; LDSByteSize: 0 bytes/workgroup (compile time only)
; SGPRBlocks: 0
; VGPRBlocks: 0
; NumSGPRsForWavesPerEU: 1
; NumVGPRsForWavesPerEU: 1
; NamedBarCnt: 0
; Occupancy: 16
; WaveLimiterHint : 0
; COMPUTE_PGM_RSRC2:SCRATCH_EN: 0
; COMPUTE_PGM_RSRC2:USER_SGPR: 2
; COMPUTE_PGM_RSRC2:TRAP_HANDLER: 0
; COMPUTE_PGM_RSRC2:TGID_X_EN: 1
; COMPUTE_PGM_RSRC2:TGID_Y_EN: 0
; COMPUTE_PGM_RSRC2:TGID_Z_EN: 0
; COMPUTE_PGM_RSRC2:TIDIG_COMP_CNT: 0
	.section	.text._ZN9rocsolver6v33100L16mfma_gemm_kernelIdidPdS2_S2_EEv18rocblas_operation_S3_T0_S4_S4_T1_T2_lS4_S4_lT3_lS4_S4_lS5_T4_lS4_S4_l,"axG",@progbits,_ZN9rocsolver6v33100L16mfma_gemm_kernelIdidPdS2_S2_EEv18rocblas_operation_S3_T0_S4_S4_T1_T2_lS4_S4_lT3_lS4_S4_lS5_T4_lS4_S4_l,comdat
	.globl	_ZN9rocsolver6v33100L16mfma_gemm_kernelIdidPdS2_S2_EEv18rocblas_operation_S3_T0_S4_S4_T1_T2_lS4_S4_lT3_lS4_S4_lS5_T4_lS4_S4_l ; -- Begin function _ZN9rocsolver6v33100L16mfma_gemm_kernelIdidPdS2_S2_EEv18rocblas_operation_S3_T0_S4_S4_T1_T2_lS4_S4_lT3_lS4_S4_lS5_T4_lS4_S4_l
	.p2align	8
	.type	_ZN9rocsolver6v33100L16mfma_gemm_kernelIdidPdS2_S2_EEv18rocblas_operation_S3_T0_S4_S4_T1_T2_lS4_S4_lT3_lS4_S4_lS5_T4_lS4_S4_l,@function
_ZN9rocsolver6v33100L16mfma_gemm_kernelIdidPdS2_S2_EEv18rocblas_operation_S3_T0_S4_S4_T1_T2_lS4_S4_lT3_lS4_S4_lS5_T4_lS4_S4_l: ; @_ZN9rocsolver6v33100L16mfma_gemm_kernelIdidPdS2_S2_EEv18rocblas_operation_S3_T0_S4_S4_T1_T2_lS4_S4_lT3_lS4_S4_lS5_T4_lS4_S4_l
; %bb.0:
	s_endpgm
	.section	.rodata,"a",@progbits
	.p2align	6, 0x0
	.amdhsa_kernel _ZN9rocsolver6v33100L16mfma_gemm_kernelIdidPdS2_S2_EEv18rocblas_operation_S3_T0_S4_S4_T1_T2_lS4_S4_lT3_lS4_S4_lS5_T4_lS4_S4_l
		.amdhsa_group_segment_fixed_size 0
		.amdhsa_private_segment_fixed_size 0
		.amdhsa_kernarg_size 136
		.amdhsa_user_sgpr_count 2
		.amdhsa_user_sgpr_dispatch_ptr 0
		.amdhsa_user_sgpr_queue_ptr 0
		.amdhsa_user_sgpr_kernarg_segment_ptr 1
		.amdhsa_user_sgpr_dispatch_id 0
		.amdhsa_user_sgpr_kernarg_preload_length 0
		.amdhsa_user_sgpr_kernarg_preload_offset 0
		.amdhsa_user_sgpr_private_segment_size 0
		.amdhsa_wavefront_size32 1
		.amdhsa_uses_dynamic_stack 0
		.amdhsa_enable_private_segment 0
		.amdhsa_system_sgpr_workgroup_id_x 1
		.amdhsa_system_sgpr_workgroup_id_y 0
		.amdhsa_system_sgpr_workgroup_id_z 0
		.amdhsa_system_sgpr_workgroup_info 0
		.amdhsa_system_vgpr_workitem_id 0
		.amdhsa_next_free_vgpr 1
		.amdhsa_next_free_sgpr 1
		.amdhsa_named_barrier_count 0
		.amdhsa_reserve_vcc 0
		.amdhsa_float_round_mode_32 0
		.amdhsa_float_round_mode_16_64 0
		.amdhsa_float_denorm_mode_32 3
		.amdhsa_float_denorm_mode_16_64 3
		.amdhsa_fp16_overflow 0
		.amdhsa_memory_ordered 1
		.amdhsa_forward_progress 1
		.amdhsa_inst_pref_size 1
		.amdhsa_round_robin_scheduling 0
		.amdhsa_exception_fp_ieee_invalid_op 0
		.amdhsa_exception_fp_denorm_src 0
		.amdhsa_exception_fp_ieee_div_zero 0
		.amdhsa_exception_fp_ieee_overflow 0
		.amdhsa_exception_fp_ieee_underflow 0
		.amdhsa_exception_fp_ieee_inexact 0
		.amdhsa_exception_int_div_zero 0
	.end_amdhsa_kernel
	.section	.text._ZN9rocsolver6v33100L16mfma_gemm_kernelIdidPdS2_S2_EEv18rocblas_operation_S3_T0_S4_S4_T1_T2_lS4_S4_lT3_lS4_S4_lS5_T4_lS4_S4_l,"axG",@progbits,_ZN9rocsolver6v33100L16mfma_gemm_kernelIdidPdS2_S2_EEv18rocblas_operation_S3_T0_S4_S4_T1_T2_lS4_S4_lT3_lS4_S4_lS5_T4_lS4_S4_l,comdat
.Lfunc_end1:
	.size	_ZN9rocsolver6v33100L16mfma_gemm_kernelIdidPdS2_S2_EEv18rocblas_operation_S3_T0_S4_S4_T1_T2_lS4_S4_lT3_lS4_S4_lS5_T4_lS4_S4_l, .Lfunc_end1-_ZN9rocsolver6v33100L16mfma_gemm_kernelIdidPdS2_S2_EEv18rocblas_operation_S3_T0_S4_S4_T1_T2_lS4_S4_lT3_lS4_S4_lS5_T4_lS4_S4_l
                                        ; -- End function
	.set _ZN9rocsolver6v33100L16mfma_gemm_kernelIdidPdS2_S2_EEv18rocblas_operation_S3_T0_S4_S4_T1_T2_lS4_S4_lT3_lS4_S4_lS5_T4_lS4_S4_l.num_vgpr, 0
	.set _ZN9rocsolver6v33100L16mfma_gemm_kernelIdidPdS2_S2_EEv18rocblas_operation_S3_T0_S4_S4_T1_T2_lS4_S4_lT3_lS4_S4_lS5_T4_lS4_S4_l.num_agpr, 0
	.set _ZN9rocsolver6v33100L16mfma_gemm_kernelIdidPdS2_S2_EEv18rocblas_operation_S3_T0_S4_S4_T1_T2_lS4_S4_lT3_lS4_S4_lS5_T4_lS4_S4_l.numbered_sgpr, 0
	.set _ZN9rocsolver6v33100L16mfma_gemm_kernelIdidPdS2_S2_EEv18rocblas_operation_S3_T0_S4_S4_T1_T2_lS4_S4_lT3_lS4_S4_lS5_T4_lS4_S4_l.num_named_barrier, 0
	.set _ZN9rocsolver6v33100L16mfma_gemm_kernelIdidPdS2_S2_EEv18rocblas_operation_S3_T0_S4_S4_T1_T2_lS4_S4_lT3_lS4_S4_lS5_T4_lS4_S4_l.private_seg_size, 0
	.set _ZN9rocsolver6v33100L16mfma_gemm_kernelIdidPdS2_S2_EEv18rocblas_operation_S3_T0_S4_S4_T1_T2_lS4_S4_lT3_lS4_S4_lS5_T4_lS4_S4_l.uses_vcc, 0
	.set _ZN9rocsolver6v33100L16mfma_gemm_kernelIdidPdS2_S2_EEv18rocblas_operation_S3_T0_S4_S4_T1_T2_lS4_S4_lT3_lS4_S4_lS5_T4_lS4_S4_l.uses_flat_scratch, 0
	.set _ZN9rocsolver6v33100L16mfma_gemm_kernelIdidPdS2_S2_EEv18rocblas_operation_S3_T0_S4_S4_T1_T2_lS4_S4_lT3_lS4_S4_lS5_T4_lS4_S4_l.has_dyn_sized_stack, 0
	.set _ZN9rocsolver6v33100L16mfma_gemm_kernelIdidPdS2_S2_EEv18rocblas_operation_S3_T0_S4_S4_T1_T2_lS4_S4_lT3_lS4_S4_lS5_T4_lS4_S4_l.has_recursion, 0
	.set _ZN9rocsolver6v33100L16mfma_gemm_kernelIdidPdS2_S2_EEv18rocblas_operation_S3_T0_S4_S4_T1_T2_lS4_S4_lT3_lS4_S4_lS5_T4_lS4_S4_l.has_indirect_call, 0
	.section	.AMDGPU.csdata,"",@progbits
; Kernel info:
; codeLenInByte = 4
; TotalNumSgprs: 0
; NumVgprs: 0
; ScratchSize: 0
; MemoryBound: 0
; FloatMode: 240
; IeeeMode: 1
; LDSByteSize: 0 bytes/workgroup (compile time only)
; SGPRBlocks: 0
; VGPRBlocks: 0
; NumSGPRsForWavesPerEU: 1
; NumVGPRsForWavesPerEU: 1
; NamedBarCnt: 0
; Occupancy: 16
; WaveLimiterHint : 0
; COMPUTE_PGM_RSRC2:SCRATCH_EN: 0
; COMPUTE_PGM_RSRC2:USER_SGPR: 2
; COMPUTE_PGM_RSRC2:TRAP_HANDLER: 0
; COMPUTE_PGM_RSRC2:TGID_X_EN: 1
; COMPUTE_PGM_RSRC2:TGID_Y_EN: 0
; COMPUTE_PGM_RSRC2:TGID_Z_EN: 0
; COMPUTE_PGM_RSRC2:TIDIG_COMP_CNT: 0
	.section	.text._ZN9rocsolver6v33100L11gemm_kernelIdiPKdPdS4_S4_EEvT0_S5_S5_T1_bT2_lS5_S5_lbT3_lS5_S5_lS6_T4_lS5_S5_l,"axG",@progbits,_ZN9rocsolver6v33100L11gemm_kernelIdiPKdPdS4_S4_EEvT0_S5_S5_T1_bT2_lS5_S5_lbT3_lS5_S5_lS6_T4_lS5_S5_l,comdat
	.globl	_ZN9rocsolver6v33100L11gemm_kernelIdiPKdPdS4_S4_EEvT0_S5_S5_T1_bT2_lS5_S5_lbT3_lS5_S5_lS6_T4_lS5_S5_l ; -- Begin function _ZN9rocsolver6v33100L11gemm_kernelIdiPKdPdS4_S4_EEvT0_S5_S5_T1_bT2_lS5_S5_lbT3_lS5_S5_lS6_T4_lS5_S5_l
	.p2align	8
	.type	_ZN9rocsolver6v33100L11gemm_kernelIdiPKdPdS4_S4_EEvT0_S5_S5_T1_bT2_lS5_S5_lbT3_lS5_S5_lS6_T4_lS5_S5_l,@function
_ZN9rocsolver6v33100L11gemm_kernelIdiPKdPdS4_S4_EEvT0_S5_S5_T1_bT2_lS5_S5_lbT3_lS5_S5_lS6_T4_lS5_S5_l: ; @_ZN9rocsolver6v33100L11gemm_kernelIdiPKdPdS4_S4_EEvT0_S5_S5_T1_bT2_lS5_S5_lbT3_lS5_S5_lS6_T4_lS5_S5_l
; %bb.0:
	s_clause 0x1
	s_load_b32 s2, s[0:1], 0x9c
	s_load_b96 s[24:26], s[0:1], 0x0
	s_bfe_u32 s4, ttmp6, 0x4000c
	s_bfe_u32 s6, ttmp6, 0x40010
	s_and_b32 s5, ttmp7, 0xffff
	s_add_co_i32 s4, s4, 1
	s_add_co_i32 s6, s6, 1
	s_and_b32 s3, ttmp6, 15
	s_bfe_u32 s7, ttmp6, 0x40004
	s_mul_i32 s4, ttmp9, s4
	s_mul_i32 s6, s5, s6
	s_getreg_b32 s12, hwreg(HW_REG_IB_STS2, 6, 4)
	v_bfe_u32 v1, v0, 10, 10
	v_and_b32_e32 v0, 0x3ff, v0
	s_add_co_i32 s3, s3, s4
	s_add_co_i32 s7, s7, s6
	s_wait_kmcnt 0x0
	s_and_b32 s4, s2, 0xffff
	s_lshr_b32 s2, s2, 16
	s_cmp_eq_u32 s12, 0
	s_cselect_b32 s3, ttmp9, s3
	s_cselect_b32 s5, s5, s7
	v_mad_u32 v6, s3, s4, v0
	v_mad_u32 v7, s5, s2, v1
	s_mov_b32 s3, 0
	s_delay_alu instid0(VALU_DEP_2) | instskip(NEXT) | instid1(VALU_DEP_2)
	v_cmp_gt_i32_e32 vcc_lo, s24, v6
	v_cmp_gt_i32_e64 s2, s25, v7
	s_and_b32 s2, vcc_lo, s2
	s_delay_alu instid0(SALU_CYCLE_1)
	s_and_saveexec_b32 s4, s2
	s_cbranch_execz .LBB2_6
; %bb.1:
	s_clause 0x1
	s_load_b64 s[24:25], s[0:1], 0x10
	s_load_b256 s[4:11], s[0:1], 0x60
	s_bfe_u32 s2, ttmp6, 0x40014
	s_lshr_b32 s13, ttmp7, 16
	s_add_co_i32 s2, s2, 1
	s_bfe_u32 s14, ttmp6, 0x40008
	s_mul_i32 s2, s13, s2
	s_delay_alu instid0(SALU_CYCLE_1)
	s_add_co_i32 s14, s14, s2
	s_cmp_eq_u32 s12, 0
	s_cselect_b32 s2, s13, s14
	s_cmp_lt_i32 s26, 1
	s_cbranch_scc1 .LBB2_4
; %bb.2:
	s_clause 0x2
	s_load_b64 s[28:29], s[0:1], 0x58
	s_load_b256 s[12:19], s[0:1], 0x20
	s_load_b128 s[20:23], s[0:1], 0x48
	s_wait_kmcnt 0x0
	s_mul_u64 s[4:5], s[4:5], s[2:3]
	v_mov_b64_e32 v[0:1], 0
	s_lshl_b64 s[4:5], s[4:5], 3
	v_mul_lo_u32 v2, v7, s29
	v_mul_lo_u32 v4, v6, s16
	s_mul_u64 s[18:19], s[18:19], s[2:3]
	s_lshl_b64 s[22:23], s[22:23], 3
	s_lshl_b64 s[14:15], s[14:15], 3
	;; [unrolled: 1-line block ×3, first 2 shown]
	s_add_nc_u64 s[4:5], s[4:5], s[22:23]
	s_add_nc_u64 s[14:15], s[18:19], s[14:15]
	;; [unrolled: 1-line block ×4, first 2 shown]
	s_ashr_i32 s29, s28, 31
	s_delay_alu instid0(VALU_DEP_1) | instskip(NEXT) | instid1(VALU_DEP_1)
	v_dual_ashrrev_i32 v3, 31, v2 :: v_dual_ashrrev_i32 v5, 31, v4
	v_lshl_add_u64 v[2:3], v[2:3], 3, s[4:5]
	s_delay_alu instid0(VALU_DEP_2)
	v_lshl_add_u64 v[4:5], v[4:5], 3, s[12:13]
	s_ashr_i32 s13, s17, 31
	s_mov_b32 s12, s17
	s_lshl_b64 s[4:5], s[28:29], 3
	s_lshl_b64 s[12:13], s[12:13], 3
.LBB2_3:                                ; =>This Inner Loop Header: Depth=1
	global_load_b64 v[8:9], v[4:5], off
	global_load_b64 v[10:11], v[2:3], off
	s_wait_xcnt 0x0
	v_add_nc_u64_e32 v[2:3], s[4:5], v[2:3]
	v_add_nc_u64_e32 v[4:5], s[12:13], v[4:5]
	s_add_co_i32 s26, s26, -1
	s_delay_alu instid0(SALU_CYCLE_1)
	s_cmp_eq_u32 s26, 0
	s_wait_loadcnt 0x0
	v_fmac_f64_e32 v[0:1], v[8:9], v[10:11]
	s_cbranch_scc0 .LBB2_3
	s_branch .LBB2_5
.LBB2_4:
	v_mov_b64_e32 v[0:1], 0
.LBB2_5:
	s_wait_kmcnt 0x0
	s_load_b64 s[4:5], s[24:25], 0x0
	s_load_b64 s[12:13], s[6:7], 0x0
                                        ; kill: killed $sgpr24_sgpr25
                                        ; kill: killed $sgpr6_sgpr7
	s_load_b128 s[16:19], s[0:1], 0x80
	s_wait_kmcnt 0x0
	v_mul_lo_u32 v2, v6, s16
	s_mul_u64 s[0:1], s[18:19], s[2:3]
	s_lshl_b64 s[2:3], s[10:11], 3
	s_lshl_b64 s[0:1], s[0:1], 3
	s_delay_alu instid0(SALU_CYCLE_1) | instskip(NEXT) | instid1(SALU_CYCLE_1)
	s_add_nc_u64 s[0:1], s[8:9], s[0:1]
	s_add_nc_u64 s[0:1], s[0:1], s[2:3]
	s_delay_alu instid0(VALU_DEP_1) | instskip(SKIP_3) | instid1(VALU_DEP_1)
	v_mad_u32 v4, v7, s17, v2
	global_load_b64 v[2:3], v4, s[0:1] scale_offset
	s_wait_loadcnt 0x0
	v_mul_f64_e32 v[2:3], s[12:13], v[2:3]
	v_fmac_f64_e32 v[2:3], s[4:5], v[0:1]
	global_store_b64 v4, v[2:3], s[0:1] scale_offset
.LBB2_6:
	s_endpgm
	.section	.rodata,"a",@progbits
	.p2align	6, 0x0
	.amdhsa_kernel _ZN9rocsolver6v33100L11gemm_kernelIdiPKdPdS4_S4_EEvT0_S5_S5_T1_bT2_lS5_S5_lbT3_lS5_S5_lS6_T4_lS5_S5_l
		.amdhsa_group_segment_fixed_size 0
		.amdhsa_private_segment_fixed_size 0
		.amdhsa_kernarg_size 400
		.amdhsa_user_sgpr_count 2
		.amdhsa_user_sgpr_dispatch_ptr 0
		.amdhsa_user_sgpr_queue_ptr 0
		.amdhsa_user_sgpr_kernarg_segment_ptr 1
		.amdhsa_user_sgpr_dispatch_id 0
		.amdhsa_user_sgpr_kernarg_preload_length 0
		.amdhsa_user_sgpr_kernarg_preload_offset 0
		.amdhsa_user_sgpr_private_segment_size 0
		.amdhsa_wavefront_size32 1
		.amdhsa_uses_dynamic_stack 0
		.amdhsa_enable_private_segment 0
		.amdhsa_system_sgpr_workgroup_id_x 1
		.amdhsa_system_sgpr_workgroup_id_y 1
		.amdhsa_system_sgpr_workgroup_id_z 1
		.amdhsa_system_sgpr_workgroup_info 0
		.amdhsa_system_vgpr_workitem_id 1
		.amdhsa_next_free_vgpr 12
		.amdhsa_next_free_sgpr 30
		.amdhsa_named_barrier_count 0
		.amdhsa_reserve_vcc 1
		.amdhsa_float_round_mode_32 0
		.amdhsa_float_round_mode_16_64 0
		.amdhsa_float_denorm_mode_32 3
		.amdhsa_float_denorm_mode_16_64 3
		.amdhsa_fp16_overflow 0
		.amdhsa_memory_ordered 1
		.amdhsa_forward_progress 1
		.amdhsa_inst_pref_size 5
		.amdhsa_round_robin_scheduling 0
		.amdhsa_exception_fp_ieee_invalid_op 0
		.amdhsa_exception_fp_denorm_src 0
		.amdhsa_exception_fp_ieee_div_zero 0
		.amdhsa_exception_fp_ieee_overflow 0
		.amdhsa_exception_fp_ieee_underflow 0
		.amdhsa_exception_fp_ieee_inexact 0
		.amdhsa_exception_int_div_zero 0
	.end_amdhsa_kernel
	.section	.text._ZN9rocsolver6v33100L11gemm_kernelIdiPKdPdS4_S4_EEvT0_S5_S5_T1_bT2_lS5_S5_lbT3_lS5_S5_lS6_T4_lS5_S5_l,"axG",@progbits,_ZN9rocsolver6v33100L11gemm_kernelIdiPKdPdS4_S4_EEvT0_S5_S5_T1_bT2_lS5_S5_lbT3_lS5_S5_lS6_T4_lS5_S5_l,comdat
.Lfunc_end2:
	.size	_ZN9rocsolver6v33100L11gemm_kernelIdiPKdPdS4_S4_EEvT0_S5_S5_T1_bT2_lS5_S5_lbT3_lS5_S5_lS6_T4_lS5_S5_l, .Lfunc_end2-_ZN9rocsolver6v33100L11gemm_kernelIdiPKdPdS4_S4_EEvT0_S5_S5_T1_bT2_lS5_S5_lbT3_lS5_S5_lS6_T4_lS5_S5_l
                                        ; -- End function
	.set _ZN9rocsolver6v33100L11gemm_kernelIdiPKdPdS4_S4_EEvT0_S5_S5_T1_bT2_lS5_S5_lbT3_lS5_S5_lS6_T4_lS5_S5_l.num_vgpr, 12
	.set _ZN9rocsolver6v33100L11gemm_kernelIdiPKdPdS4_S4_EEvT0_S5_S5_T1_bT2_lS5_S5_lbT3_lS5_S5_lS6_T4_lS5_S5_l.num_agpr, 0
	.set _ZN9rocsolver6v33100L11gemm_kernelIdiPKdPdS4_S4_EEvT0_S5_S5_T1_bT2_lS5_S5_lbT3_lS5_S5_lS6_T4_lS5_S5_l.numbered_sgpr, 30
	.set _ZN9rocsolver6v33100L11gemm_kernelIdiPKdPdS4_S4_EEvT0_S5_S5_T1_bT2_lS5_S5_lbT3_lS5_S5_lS6_T4_lS5_S5_l.num_named_barrier, 0
	.set _ZN9rocsolver6v33100L11gemm_kernelIdiPKdPdS4_S4_EEvT0_S5_S5_T1_bT2_lS5_S5_lbT3_lS5_S5_lS6_T4_lS5_S5_l.private_seg_size, 0
	.set _ZN9rocsolver6v33100L11gemm_kernelIdiPKdPdS4_S4_EEvT0_S5_S5_T1_bT2_lS5_S5_lbT3_lS5_S5_lS6_T4_lS5_S5_l.uses_vcc, 1
	.set _ZN9rocsolver6v33100L11gemm_kernelIdiPKdPdS4_S4_EEvT0_S5_S5_T1_bT2_lS5_S5_lbT3_lS5_S5_lS6_T4_lS5_S5_l.uses_flat_scratch, 0
	.set _ZN9rocsolver6v33100L11gemm_kernelIdiPKdPdS4_S4_EEvT0_S5_S5_T1_bT2_lS5_S5_lbT3_lS5_S5_lS6_T4_lS5_S5_l.has_dyn_sized_stack, 0
	.set _ZN9rocsolver6v33100L11gemm_kernelIdiPKdPdS4_S4_EEvT0_S5_S5_T1_bT2_lS5_S5_lbT3_lS5_S5_lS6_T4_lS5_S5_l.has_recursion, 0
	.set _ZN9rocsolver6v33100L11gemm_kernelIdiPKdPdS4_S4_EEvT0_S5_S5_T1_bT2_lS5_S5_lbT3_lS5_S5_lS6_T4_lS5_S5_l.has_indirect_call, 0
	.section	.AMDGPU.csdata,"",@progbits
; Kernel info:
; codeLenInByte = 584
; TotalNumSgprs: 32
; NumVgprs: 12
; ScratchSize: 0
; MemoryBound: 0
; FloatMode: 240
; IeeeMode: 1
; LDSByteSize: 0 bytes/workgroup (compile time only)
; SGPRBlocks: 0
; VGPRBlocks: 0
; NumSGPRsForWavesPerEU: 32
; NumVGPRsForWavesPerEU: 12
; NamedBarCnt: 0
; Occupancy: 16
; WaveLimiterHint : 1
; COMPUTE_PGM_RSRC2:SCRATCH_EN: 0
; COMPUTE_PGM_RSRC2:USER_SGPR: 2
; COMPUTE_PGM_RSRC2:TRAP_HANDLER: 0
; COMPUTE_PGM_RSRC2:TGID_X_EN: 1
; COMPUTE_PGM_RSRC2:TGID_Y_EN: 1
; COMPUTE_PGM_RSRC2:TGID_Z_EN: 1
; COMPUTE_PGM_RSRC2:TIDIG_COMP_CNT: 1
	.section	.text._ZN9rocsolver6v33100L11gemm_kernelIdidPdS2_S2_EEvT0_S3_S3_T1_bT2_lS3_S3_lbT3_lS3_S3_lS4_T4_lS3_S3_l,"axG",@progbits,_ZN9rocsolver6v33100L11gemm_kernelIdidPdS2_S2_EEvT0_S3_S3_T1_bT2_lS3_S3_lbT3_lS3_S3_lS4_T4_lS3_S3_l,comdat
	.globl	_ZN9rocsolver6v33100L11gemm_kernelIdidPdS2_S2_EEvT0_S3_S3_T1_bT2_lS3_S3_lbT3_lS3_S3_lS4_T4_lS3_S3_l ; -- Begin function _ZN9rocsolver6v33100L11gemm_kernelIdidPdS2_S2_EEvT0_S3_S3_T1_bT2_lS3_S3_lbT3_lS3_S3_lS4_T4_lS3_S3_l
	.p2align	8
	.type	_ZN9rocsolver6v33100L11gemm_kernelIdidPdS2_S2_EEvT0_S3_S3_T1_bT2_lS3_S3_lbT3_lS3_S3_lS4_T4_lS3_S3_l,@function
_ZN9rocsolver6v33100L11gemm_kernelIdidPdS2_S2_EEvT0_S3_S3_T1_bT2_lS3_S3_lbT3_lS3_S3_lS4_T4_lS3_S3_l: ; @_ZN9rocsolver6v33100L11gemm_kernelIdidPdS2_S2_EEvT0_S3_S3_T1_bT2_lS3_S3_lbT3_lS3_S3_lS4_T4_lS3_S3_l
; %bb.0:
	s_clause 0x1
	s_load_b32 s2, s[0:1], 0x9c
	s_load_b96 s[24:26], s[0:1], 0x0
	s_bfe_u32 s4, ttmp6, 0x4000c
	s_bfe_u32 s6, ttmp6, 0x40010
	s_and_b32 s5, ttmp7, 0xffff
	s_add_co_i32 s4, s4, 1
	s_add_co_i32 s6, s6, 1
	s_and_b32 s3, ttmp6, 15
	s_bfe_u32 s7, ttmp6, 0x40004
	s_mul_i32 s4, ttmp9, s4
	s_mul_i32 s6, s5, s6
	s_getreg_b32 s12, hwreg(HW_REG_IB_STS2, 6, 4)
	v_bfe_u32 v1, v0, 10, 10
	v_and_b32_e32 v0, 0x3ff, v0
	s_add_co_i32 s3, s3, s4
	s_add_co_i32 s7, s7, s6
	s_wait_kmcnt 0x0
	s_and_b32 s4, s2, 0xffff
	s_lshr_b32 s2, s2, 16
	s_cmp_eq_u32 s12, 0
	s_cselect_b32 s3, ttmp9, s3
	s_cselect_b32 s5, s5, s7
	v_mad_u32 v6, s3, s4, v0
	v_mad_u32 v7, s5, s2, v1
	s_mov_b32 s3, 0
	s_delay_alu instid0(VALU_DEP_2) | instskip(NEXT) | instid1(VALU_DEP_2)
	v_cmp_gt_i32_e32 vcc_lo, s24, v6
	v_cmp_gt_i32_e64 s2, s25, v7
	s_and_b32 s2, vcc_lo, s2
	s_delay_alu instid0(SALU_CYCLE_1)
	s_and_saveexec_b32 s4, s2
	s_cbranch_execz .LBB3_6
; %bb.1:
	s_load_b256 s[4:11], s[0:1], 0x60
	s_bfe_u32 s2, ttmp6, 0x40014
	s_lshr_b32 s13, ttmp7, 16
	s_add_co_i32 s2, s2, 1
	s_bfe_u32 s14, ttmp6, 0x40008
	s_mul_i32 s2, s13, s2
	s_delay_alu instid0(SALU_CYCLE_1)
	s_add_co_i32 s14, s14, s2
	s_cmp_eq_u32 s12, 0
	s_cselect_b32 s2, s13, s14
	s_cmp_lt_i32 s26, 1
	s_cbranch_scc1 .LBB3_4
; %bb.2:
	s_clause 0x2
	s_load_b64 s[24:25], s[0:1], 0x58
	s_load_b256 s[12:19], s[0:1], 0x20
	s_load_b128 s[20:23], s[0:1], 0x48
	s_wait_kmcnt 0x0
	s_mul_u64 s[4:5], s[4:5], s[2:3]
	v_mov_b64_e32 v[0:1], 0
	s_lshl_b64 s[4:5], s[4:5], 3
	v_mul_lo_u32 v2, v7, s25
	v_mul_lo_u32 v4, v6, s16
	s_mul_u64 s[18:19], s[18:19], s[2:3]
	s_lshl_b64 s[22:23], s[22:23], 3
	s_lshl_b64 s[14:15], s[14:15], 3
	;; [unrolled: 1-line block ×3, first 2 shown]
	s_add_nc_u64 s[4:5], s[4:5], s[22:23]
	s_add_nc_u64 s[14:15], s[18:19], s[14:15]
	;; [unrolled: 1-line block ×4, first 2 shown]
	s_ashr_i32 s25, s24, 31
	s_delay_alu instid0(VALU_DEP_1) | instskip(NEXT) | instid1(VALU_DEP_1)
	v_dual_ashrrev_i32 v3, 31, v2 :: v_dual_ashrrev_i32 v5, 31, v4
	v_lshl_add_u64 v[2:3], v[2:3], 3, s[4:5]
	s_delay_alu instid0(VALU_DEP_2)
	v_lshl_add_u64 v[4:5], v[4:5], 3, s[12:13]
	s_ashr_i32 s13, s17, 31
	s_mov_b32 s12, s17
	s_lshl_b64 s[4:5], s[24:25], 3
	s_lshl_b64 s[12:13], s[12:13], 3
.LBB3_3:                                ; =>This Inner Loop Header: Depth=1
	global_load_b64 v[8:9], v[4:5], off
	global_load_b64 v[10:11], v[2:3], off
	s_wait_xcnt 0x0
	v_add_nc_u64_e32 v[2:3], s[4:5], v[2:3]
	v_add_nc_u64_e32 v[4:5], s[12:13], v[4:5]
	s_add_co_i32 s26, s26, -1
	s_delay_alu instid0(SALU_CYCLE_1)
	s_cmp_eq_u32 s26, 0
	s_wait_loadcnt 0x0
	v_fmac_f64_e32 v[0:1], v[8:9], v[10:11]
	s_cbranch_scc0 .LBB3_3
	s_branch .LBB3_5
.LBB3_4:
	v_mov_b64_e32 v[0:1], 0
.LBB3_5:
	s_load_b128 s[12:15], s[0:1], 0x80
	s_wait_kmcnt 0x0
	s_lshl_b64 s[4:5], s[10:11], 3
	s_load_b64 s[0:1], s[0:1], 0x10
	v_mul_lo_u32 v2, v6, s12
	s_mul_u64 s[2:3], s[14:15], s[2:3]
	s_delay_alu instid0(SALU_CYCLE_1) | instskip(NEXT) | instid1(SALU_CYCLE_1)
	s_lshl_b64 s[2:3], s[2:3], 3
	s_add_nc_u64 s[2:3], s[8:9], s[2:3]
	s_delay_alu instid0(SALU_CYCLE_1) | instskip(NEXT) | instid1(VALU_DEP_1)
	s_add_nc_u64 s[2:3], s[2:3], s[4:5]
	v_mad_u32 v4, v7, s13, v2
	global_load_b64 v[2:3], v4, s[2:3] scale_offset
	s_wait_loadcnt 0x0
	v_mul_f64_e32 v[2:3], s[6:7], v[2:3]
	s_wait_kmcnt 0x0
	s_delay_alu instid0(VALU_DEP_1)
	v_fmac_f64_e32 v[2:3], s[0:1], v[0:1]
	global_store_b64 v4, v[2:3], s[2:3] scale_offset
.LBB3_6:
	s_endpgm
	.section	.rodata,"a",@progbits
	.p2align	6, 0x0
	.amdhsa_kernel _ZN9rocsolver6v33100L11gemm_kernelIdidPdS2_S2_EEvT0_S3_S3_T1_bT2_lS3_S3_lbT3_lS3_S3_lS4_T4_lS3_S3_l
		.amdhsa_group_segment_fixed_size 0
		.amdhsa_private_segment_fixed_size 0
		.amdhsa_kernarg_size 400
		.amdhsa_user_sgpr_count 2
		.amdhsa_user_sgpr_dispatch_ptr 0
		.amdhsa_user_sgpr_queue_ptr 0
		.amdhsa_user_sgpr_kernarg_segment_ptr 1
		.amdhsa_user_sgpr_dispatch_id 0
		.amdhsa_user_sgpr_kernarg_preload_length 0
		.amdhsa_user_sgpr_kernarg_preload_offset 0
		.amdhsa_user_sgpr_private_segment_size 0
		.amdhsa_wavefront_size32 1
		.amdhsa_uses_dynamic_stack 0
		.amdhsa_enable_private_segment 0
		.amdhsa_system_sgpr_workgroup_id_x 1
		.amdhsa_system_sgpr_workgroup_id_y 1
		.amdhsa_system_sgpr_workgroup_id_z 1
		.amdhsa_system_sgpr_workgroup_info 0
		.amdhsa_system_vgpr_workitem_id 1
		.amdhsa_next_free_vgpr 12
		.amdhsa_next_free_sgpr 27
		.amdhsa_named_barrier_count 0
		.amdhsa_reserve_vcc 1
		.amdhsa_float_round_mode_32 0
		.amdhsa_float_round_mode_16_64 0
		.amdhsa_float_denorm_mode_32 3
		.amdhsa_float_denorm_mode_16_64 3
		.amdhsa_fp16_overflow 0
		.amdhsa_memory_ordered 1
		.amdhsa_forward_progress 1
		.amdhsa_inst_pref_size 5
		.amdhsa_round_robin_scheduling 0
		.amdhsa_exception_fp_ieee_invalid_op 0
		.amdhsa_exception_fp_denorm_src 0
		.amdhsa_exception_fp_ieee_div_zero 0
		.amdhsa_exception_fp_ieee_overflow 0
		.amdhsa_exception_fp_ieee_underflow 0
		.amdhsa_exception_fp_ieee_inexact 0
		.amdhsa_exception_int_div_zero 0
	.end_amdhsa_kernel
	.section	.text._ZN9rocsolver6v33100L11gemm_kernelIdidPdS2_S2_EEvT0_S3_S3_T1_bT2_lS3_S3_lbT3_lS3_S3_lS4_T4_lS3_S3_l,"axG",@progbits,_ZN9rocsolver6v33100L11gemm_kernelIdidPdS2_S2_EEvT0_S3_S3_T1_bT2_lS3_S3_lbT3_lS3_S3_lS4_T4_lS3_S3_l,comdat
.Lfunc_end3:
	.size	_ZN9rocsolver6v33100L11gemm_kernelIdidPdS2_S2_EEvT0_S3_S3_T1_bT2_lS3_S3_lbT3_lS3_S3_lS4_T4_lS3_S3_l, .Lfunc_end3-_ZN9rocsolver6v33100L11gemm_kernelIdidPdS2_S2_EEvT0_S3_S3_T1_bT2_lS3_S3_lbT3_lS3_S3_lS4_T4_lS3_S3_l
                                        ; -- End function
	.set _ZN9rocsolver6v33100L11gemm_kernelIdidPdS2_S2_EEvT0_S3_S3_T1_bT2_lS3_S3_lbT3_lS3_S3_lS4_T4_lS3_S3_l.num_vgpr, 12
	.set _ZN9rocsolver6v33100L11gemm_kernelIdidPdS2_S2_EEvT0_S3_S3_T1_bT2_lS3_S3_lbT3_lS3_S3_lS4_T4_lS3_S3_l.num_agpr, 0
	.set _ZN9rocsolver6v33100L11gemm_kernelIdidPdS2_S2_EEvT0_S3_S3_T1_bT2_lS3_S3_lbT3_lS3_S3_lS4_T4_lS3_S3_l.numbered_sgpr, 27
	.set _ZN9rocsolver6v33100L11gemm_kernelIdidPdS2_S2_EEvT0_S3_S3_T1_bT2_lS3_S3_lbT3_lS3_S3_lS4_T4_lS3_S3_l.num_named_barrier, 0
	.set _ZN9rocsolver6v33100L11gemm_kernelIdidPdS2_S2_EEvT0_S3_S3_T1_bT2_lS3_S3_lbT3_lS3_S3_lS4_T4_lS3_S3_l.private_seg_size, 0
	.set _ZN9rocsolver6v33100L11gemm_kernelIdidPdS2_S2_EEvT0_S3_S3_T1_bT2_lS3_S3_lbT3_lS3_S3_lS4_T4_lS3_S3_l.uses_vcc, 1
	.set _ZN9rocsolver6v33100L11gemm_kernelIdidPdS2_S2_EEvT0_S3_S3_T1_bT2_lS3_S3_lbT3_lS3_S3_lS4_T4_lS3_S3_l.uses_flat_scratch, 0
	.set _ZN9rocsolver6v33100L11gemm_kernelIdidPdS2_S2_EEvT0_S3_S3_T1_bT2_lS3_S3_lbT3_lS3_S3_lS4_T4_lS3_S3_l.has_dyn_sized_stack, 0
	.set _ZN9rocsolver6v33100L11gemm_kernelIdidPdS2_S2_EEvT0_S3_S3_T1_bT2_lS3_S3_lbT3_lS3_S3_lS4_T4_lS3_S3_l.has_recursion, 0
	.set _ZN9rocsolver6v33100L11gemm_kernelIdidPdS2_S2_EEvT0_S3_S3_T1_bT2_lS3_S3_lbT3_lS3_S3_lS4_T4_lS3_S3_l.has_indirect_call, 0
	.section	.AMDGPU.csdata,"",@progbits
; Kernel info:
; codeLenInByte = 568
; TotalNumSgprs: 29
; NumVgprs: 12
; ScratchSize: 0
; MemoryBound: 0
; FloatMode: 240
; IeeeMode: 1
; LDSByteSize: 0 bytes/workgroup (compile time only)
; SGPRBlocks: 0
; VGPRBlocks: 0
; NumSGPRsForWavesPerEU: 29
; NumVGPRsForWavesPerEU: 12
; NamedBarCnt: 0
; Occupancy: 16
; WaveLimiterHint : 1
; COMPUTE_PGM_RSRC2:SCRATCH_EN: 0
; COMPUTE_PGM_RSRC2:USER_SGPR: 2
; COMPUTE_PGM_RSRC2:TRAP_HANDLER: 0
; COMPUTE_PGM_RSRC2:TGID_X_EN: 1
; COMPUTE_PGM_RSRC2:TGID_Y_EN: 1
; COMPUTE_PGM_RSRC2:TGID_Z_EN: 1
; COMPUTE_PGM_RSRC2:TIDIG_COMP_CNT: 1
	.section	.text._ZN9rocsolver6v33100L16mfma_gemm_kernelIdiPKdPKPdS6_S6_EEv18rocblas_operation_S7_T0_S8_S8_T1_T2_lS8_S8_lT3_lS8_S8_lS9_T4_lS8_S8_l,"axG",@progbits,_ZN9rocsolver6v33100L16mfma_gemm_kernelIdiPKdPKPdS6_S6_EEv18rocblas_operation_S7_T0_S8_S8_T1_T2_lS8_S8_lT3_lS8_S8_lS9_T4_lS8_S8_l,comdat
	.globl	_ZN9rocsolver6v33100L16mfma_gemm_kernelIdiPKdPKPdS6_S6_EEv18rocblas_operation_S7_T0_S8_S8_T1_T2_lS8_S8_lT3_lS8_S8_lS9_T4_lS8_S8_l ; -- Begin function _ZN9rocsolver6v33100L16mfma_gemm_kernelIdiPKdPKPdS6_S6_EEv18rocblas_operation_S7_T0_S8_S8_T1_T2_lS8_S8_lT3_lS8_S8_lS9_T4_lS8_S8_l
	.p2align	8
	.type	_ZN9rocsolver6v33100L16mfma_gemm_kernelIdiPKdPKPdS6_S6_EEv18rocblas_operation_S7_T0_S8_S8_T1_T2_lS8_S8_lT3_lS8_S8_lS9_T4_lS8_S8_l,@function
_ZN9rocsolver6v33100L16mfma_gemm_kernelIdiPKdPKPdS6_S6_EEv18rocblas_operation_S7_T0_S8_S8_T1_T2_lS8_S8_lT3_lS8_S8_lS9_T4_lS8_S8_l: ; @_ZN9rocsolver6v33100L16mfma_gemm_kernelIdiPKdPKPdS6_S6_EEv18rocblas_operation_S7_T0_S8_S8_T1_T2_lS8_S8_lT3_lS8_S8_lS9_T4_lS8_S8_l
; %bb.0:
	s_endpgm
	.section	.rodata,"a",@progbits
	.p2align	6, 0x0
	.amdhsa_kernel _ZN9rocsolver6v33100L16mfma_gemm_kernelIdiPKdPKPdS6_S6_EEv18rocblas_operation_S7_T0_S8_S8_T1_T2_lS8_S8_lT3_lS8_S8_lS9_T4_lS8_S8_l
		.amdhsa_group_segment_fixed_size 0
		.amdhsa_private_segment_fixed_size 0
		.amdhsa_kernarg_size 136
		.amdhsa_user_sgpr_count 2
		.amdhsa_user_sgpr_dispatch_ptr 0
		.amdhsa_user_sgpr_queue_ptr 0
		.amdhsa_user_sgpr_kernarg_segment_ptr 1
		.amdhsa_user_sgpr_dispatch_id 0
		.amdhsa_user_sgpr_kernarg_preload_length 0
		.amdhsa_user_sgpr_kernarg_preload_offset 0
		.amdhsa_user_sgpr_private_segment_size 0
		.amdhsa_wavefront_size32 1
		.amdhsa_uses_dynamic_stack 0
		.amdhsa_enable_private_segment 0
		.amdhsa_system_sgpr_workgroup_id_x 1
		.amdhsa_system_sgpr_workgroup_id_y 0
		.amdhsa_system_sgpr_workgroup_id_z 0
		.amdhsa_system_sgpr_workgroup_info 0
		.amdhsa_system_vgpr_workitem_id 0
		.amdhsa_next_free_vgpr 1
		.amdhsa_next_free_sgpr 1
		.amdhsa_named_barrier_count 0
		.amdhsa_reserve_vcc 0
		.amdhsa_float_round_mode_32 0
		.amdhsa_float_round_mode_16_64 0
		.amdhsa_float_denorm_mode_32 3
		.amdhsa_float_denorm_mode_16_64 3
		.amdhsa_fp16_overflow 0
		.amdhsa_memory_ordered 1
		.amdhsa_forward_progress 1
		.amdhsa_inst_pref_size 1
		.amdhsa_round_robin_scheduling 0
		.amdhsa_exception_fp_ieee_invalid_op 0
		.amdhsa_exception_fp_denorm_src 0
		.amdhsa_exception_fp_ieee_div_zero 0
		.amdhsa_exception_fp_ieee_overflow 0
		.amdhsa_exception_fp_ieee_underflow 0
		.amdhsa_exception_fp_ieee_inexact 0
		.amdhsa_exception_int_div_zero 0
	.end_amdhsa_kernel
	.section	.text._ZN9rocsolver6v33100L16mfma_gemm_kernelIdiPKdPKPdS6_S6_EEv18rocblas_operation_S7_T0_S8_S8_T1_T2_lS8_S8_lT3_lS8_S8_lS9_T4_lS8_S8_l,"axG",@progbits,_ZN9rocsolver6v33100L16mfma_gemm_kernelIdiPKdPKPdS6_S6_EEv18rocblas_operation_S7_T0_S8_S8_T1_T2_lS8_S8_lT3_lS8_S8_lS9_T4_lS8_S8_l,comdat
.Lfunc_end4:
	.size	_ZN9rocsolver6v33100L16mfma_gemm_kernelIdiPKdPKPdS6_S6_EEv18rocblas_operation_S7_T0_S8_S8_T1_T2_lS8_S8_lT3_lS8_S8_lS9_T4_lS8_S8_l, .Lfunc_end4-_ZN9rocsolver6v33100L16mfma_gemm_kernelIdiPKdPKPdS6_S6_EEv18rocblas_operation_S7_T0_S8_S8_T1_T2_lS8_S8_lT3_lS8_S8_lS9_T4_lS8_S8_l
                                        ; -- End function
	.set _ZN9rocsolver6v33100L16mfma_gemm_kernelIdiPKdPKPdS6_S6_EEv18rocblas_operation_S7_T0_S8_S8_T1_T2_lS8_S8_lT3_lS8_S8_lS9_T4_lS8_S8_l.num_vgpr, 0
	.set _ZN9rocsolver6v33100L16mfma_gemm_kernelIdiPKdPKPdS6_S6_EEv18rocblas_operation_S7_T0_S8_S8_T1_T2_lS8_S8_lT3_lS8_S8_lS9_T4_lS8_S8_l.num_agpr, 0
	.set _ZN9rocsolver6v33100L16mfma_gemm_kernelIdiPKdPKPdS6_S6_EEv18rocblas_operation_S7_T0_S8_S8_T1_T2_lS8_S8_lT3_lS8_S8_lS9_T4_lS8_S8_l.numbered_sgpr, 0
	.set _ZN9rocsolver6v33100L16mfma_gemm_kernelIdiPKdPKPdS6_S6_EEv18rocblas_operation_S7_T0_S8_S8_T1_T2_lS8_S8_lT3_lS8_S8_lS9_T4_lS8_S8_l.num_named_barrier, 0
	.set _ZN9rocsolver6v33100L16mfma_gemm_kernelIdiPKdPKPdS6_S6_EEv18rocblas_operation_S7_T0_S8_S8_T1_T2_lS8_S8_lT3_lS8_S8_lS9_T4_lS8_S8_l.private_seg_size, 0
	.set _ZN9rocsolver6v33100L16mfma_gemm_kernelIdiPKdPKPdS6_S6_EEv18rocblas_operation_S7_T0_S8_S8_T1_T2_lS8_S8_lT3_lS8_S8_lS9_T4_lS8_S8_l.uses_vcc, 0
	.set _ZN9rocsolver6v33100L16mfma_gemm_kernelIdiPKdPKPdS6_S6_EEv18rocblas_operation_S7_T0_S8_S8_T1_T2_lS8_S8_lT3_lS8_S8_lS9_T4_lS8_S8_l.uses_flat_scratch, 0
	.set _ZN9rocsolver6v33100L16mfma_gemm_kernelIdiPKdPKPdS6_S6_EEv18rocblas_operation_S7_T0_S8_S8_T1_T2_lS8_S8_lT3_lS8_S8_lS9_T4_lS8_S8_l.has_dyn_sized_stack, 0
	.set _ZN9rocsolver6v33100L16mfma_gemm_kernelIdiPKdPKPdS6_S6_EEv18rocblas_operation_S7_T0_S8_S8_T1_T2_lS8_S8_lT3_lS8_S8_lS9_T4_lS8_S8_l.has_recursion, 0
	.set _ZN9rocsolver6v33100L16mfma_gemm_kernelIdiPKdPKPdS6_S6_EEv18rocblas_operation_S7_T0_S8_S8_T1_T2_lS8_S8_lT3_lS8_S8_lS9_T4_lS8_S8_l.has_indirect_call, 0
	.section	.AMDGPU.csdata,"",@progbits
; Kernel info:
; codeLenInByte = 4
; TotalNumSgprs: 0
; NumVgprs: 0
; ScratchSize: 0
; MemoryBound: 0
; FloatMode: 240
; IeeeMode: 1
; LDSByteSize: 0 bytes/workgroup (compile time only)
; SGPRBlocks: 0
; VGPRBlocks: 0
; NumSGPRsForWavesPerEU: 1
; NumVGPRsForWavesPerEU: 1
; NamedBarCnt: 0
; Occupancy: 16
; WaveLimiterHint : 0
; COMPUTE_PGM_RSRC2:SCRATCH_EN: 0
; COMPUTE_PGM_RSRC2:USER_SGPR: 2
; COMPUTE_PGM_RSRC2:TRAP_HANDLER: 0
; COMPUTE_PGM_RSRC2:TGID_X_EN: 1
; COMPUTE_PGM_RSRC2:TGID_Y_EN: 0
; COMPUTE_PGM_RSRC2:TGID_Z_EN: 0
; COMPUTE_PGM_RSRC2:TIDIG_COMP_CNT: 0
	.section	.text._ZN9rocsolver6v33100L16mfma_gemm_kernelIdidPKPdS4_S4_EEv18rocblas_operation_S5_T0_S6_S6_T1_T2_lS6_S6_lT3_lS6_S6_lS7_T4_lS6_S6_l,"axG",@progbits,_ZN9rocsolver6v33100L16mfma_gemm_kernelIdidPKPdS4_S4_EEv18rocblas_operation_S5_T0_S6_S6_T1_T2_lS6_S6_lT3_lS6_S6_lS7_T4_lS6_S6_l,comdat
	.globl	_ZN9rocsolver6v33100L16mfma_gemm_kernelIdidPKPdS4_S4_EEv18rocblas_operation_S5_T0_S6_S6_T1_T2_lS6_S6_lT3_lS6_S6_lS7_T4_lS6_S6_l ; -- Begin function _ZN9rocsolver6v33100L16mfma_gemm_kernelIdidPKPdS4_S4_EEv18rocblas_operation_S5_T0_S6_S6_T1_T2_lS6_S6_lT3_lS6_S6_lS7_T4_lS6_S6_l
	.p2align	8
	.type	_ZN9rocsolver6v33100L16mfma_gemm_kernelIdidPKPdS4_S4_EEv18rocblas_operation_S5_T0_S6_S6_T1_T2_lS6_S6_lT3_lS6_S6_lS7_T4_lS6_S6_l,@function
_ZN9rocsolver6v33100L16mfma_gemm_kernelIdidPKPdS4_S4_EEv18rocblas_operation_S5_T0_S6_S6_T1_T2_lS6_S6_lT3_lS6_S6_lS7_T4_lS6_S6_l: ; @_ZN9rocsolver6v33100L16mfma_gemm_kernelIdidPKPdS4_S4_EEv18rocblas_operation_S5_T0_S6_S6_T1_T2_lS6_S6_lT3_lS6_S6_lS7_T4_lS6_S6_l
; %bb.0:
	s_endpgm
	.section	.rodata,"a",@progbits
	.p2align	6, 0x0
	.amdhsa_kernel _ZN9rocsolver6v33100L16mfma_gemm_kernelIdidPKPdS4_S4_EEv18rocblas_operation_S5_T0_S6_S6_T1_T2_lS6_S6_lT3_lS6_S6_lS7_T4_lS6_S6_l
		.amdhsa_group_segment_fixed_size 0
		.amdhsa_private_segment_fixed_size 0
		.amdhsa_kernarg_size 136
		.amdhsa_user_sgpr_count 2
		.amdhsa_user_sgpr_dispatch_ptr 0
		.amdhsa_user_sgpr_queue_ptr 0
		.amdhsa_user_sgpr_kernarg_segment_ptr 1
		.amdhsa_user_sgpr_dispatch_id 0
		.amdhsa_user_sgpr_kernarg_preload_length 0
		.amdhsa_user_sgpr_kernarg_preload_offset 0
		.amdhsa_user_sgpr_private_segment_size 0
		.amdhsa_wavefront_size32 1
		.amdhsa_uses_dynamic_stack 0
		.amdhsa_enable_private_segment 0
		.amdhsa_system_sgpr_workgroup_id_x 1
		.amdhsa_system_sgpr_workgroup_id_y 0
		.amdhsa_system_sgpr_workgroup_id_z 0
		.amdhsa_system_sgpr_workgroup_info 0
		.amdhsa_system_vgpr_workitem_id 0
		.amdhsa_next_free_vgpr 1
		.amdhsa_next_free_sgpr 1
		.amdhsa_named_barrier_count 0
		.amdhsa_reserve_vcc 0
		.amdhsa_float_round_mode_32 0
		.amdhsa_float_round_mode_16_64 0
		.amdhsa_float_denorm_mode_32 3
		.amdhsa_float_denorm_mode_16_64 3
		.amdhsa_fp16_overflow 0
		.amdhsa_memory_ordered 1
		.amdhsa_forward_progress 1
		.amdhsa_inst_pref_size 1
		.amdhsa_round_robin_scheduling 0
		.amdhsa_exception_fp_ieee_invalid_op 0
		.amdhsa_exception_fp_denorm_src 0
		.amdhsa_exception_fp_ieee_div_zero 0
		.amdhsa_exception_fp_ieee_overflow 0
		.amdhsa_exception_fp_ieee_underflow 0
		.amdhsa_exception_fp_ieee_inexact 0
		.amdhsa_exception_int_div_zero 0
	.end_amdhsa_kernel
	.section	.text._ZN9rocsolver6v33100L16mfma_gemm_kernelIdidPKPdS4_S4_EEv18rocblas_operation_S5_T0_S6_S6_T1_T2_lS6_S6_lT3_lS6_S6_lS7_T4_lS6_S6_l,"axG",@progbits,_ZN9rocsolver6v33100L16mfma_gemm_kernelIdidPKPdS4_S4_EEv18rocblas_operation_S5_T0_S6_S6_T1_T2_lS6_S6_lT3_lS6_S6_lS7_T4_lS6_S6_l,comdat
.Lfunc_end5:
	.size	_ZN9rocsolver6v33100L16mfma_gemm_kernelIdidPKPdS4_S4_EEv18rocblas_operation_S5_T0_S6_S6_T1_T2_lS6_S6_lT3_lS6_S6_lS7_T4_lS6_S6_l, .Lfunc_end5-_ZN9rocsolver6v33100L16mfma_gemm_kernelIdidPKPdS4_S4_EEv18rocblas_operation_S5_T0_S6_S6_T1_T2_lS6_S6_lT3_lS6_S6_lS7_T4_lS6_S6_l
                                        ; -- End function
	.set _ZN9rocsolver6v33100L16mfma_gemm_kernelIdidPKPdS4_S4_EEv18rocblas_operation_S5_T0_S6_S6_T1_T2_lS6_S6_lT3_lS6_S6_lS7_T4_lS6_S6_l.num_vgpr, 0
	.set _ZN9rocsolver6v33100L16mfma_gemm_kernelIdidPKPdS4_S4_EEv18rocblas_operation_S5_T0_S6_S6_T1_T2_lS6_S6_lT3_lS6_S6_lS7_T4_lS6_S6_l.num_agpr, 0
	.set _ZN9rocsolver6v33100L16mfma_gemm_kernelIdidPKPdS4_S4_EEv18rocblas_operation_S5_T0_S6_S6_T1_T2_lS6_S6_lT3_lS6_S6_lS7_T4_lS6_S6_l.numbered_sgpr, 0
	.set _ZN9rocsolver6v33100L16mfma_gemm_kernelIdidPKPdS4_S4_EEv18rocblas_operation_S5_T0_S6_S6_T1_T2_lS6_S6_lT3_lS6_S6_lS7_T4_lS6_S6_l.num_named_barrier, 0
	.set _ZN9rocsolver6v33100L16mfma_gemm_kernelIdidPKPdS4_S4_EEv18rocblas_operation_S5_T0_S6_S6_T1_T2_lS6_S6_lT3_lS6_S6_lS7_T4_lS6_S6_l.private_seg_size, 0
	.set _ZN9rocsolver6v33100L16mfma_gemm_kernelIdidPKPdS4_S4_EEv18rocblas_operation_S5_T0_S6_S6_T1_T2_lS6_S6_lT3_lS6_S6_lS7_T4_lS6_S6_l.uses_vcc, 0
	.set _ZN9rocsolver6v33100L16mfma_gemm_kernelIdidPKPdS4_S4_EEv18rocblas_operation_S5_T0_S6_S6_T1_T2_lS6_S6_lT3_lS6_S6_lS7_T4_lS6_S6_l.uses_flat_scratch, 0
	.set _ZN9rocsolver6v33100L16mfma_gemm_kernelIdidPKPdS4_S4_EEv18rocblas_operation_S5_T0_S6_S6_T1_T2_lS6_S6_lT3_lS6_S6_lS7_T4_lS6_S6_l.has_dyn_sized_stack, 0
	.set _ZN9rocsolver6v33100L16mfma_gemm_kernelIdidPKPdS4_S4_EEv18rocblas_operation_S5_T0_S6_S6_T1_T2_lS6_S6_lT3_lS6_S6_lS7_T4_lS6_S6_l.has_recursion, 0
	.set _ZN9rocsolver6v33100L16mfma_gemm_kernelIdidPKPdS4_S4_EEv18rocblas_operation_S5_T0_S6_S6_T1_T2_lS6_S6_lT3_lS6_S6_lS7_T4_lS6_S6_l.has_indirect_call, 0
	.section	.AMDGPU.csdata,"",@progbits
; Kernel info:
; codeLenInByte = 4
; TotalNumSgprs: 0
; NumVgprs: 0
; ScratchSize: 0
; MemoryBound: 0
; FloatMode: 240
; IeeeMode: 1
; LDSByteSize: 0 bytes/workgroup (compile time only)
; SGPRBlocks: 0
; VGPRBlocks: 0
; NumSGPRsForWavesPerEU: 1
; NumVGPRsForWavesPerEU: 1
; NamedBarCnt: 0
; Occupancy: 16
; WaveLimiterHint : 0
; COMPUTE_PGM_RSRC2:SCRATCH_EN: 0
; COMPUTE_PGM_RSRC2:USER_SGPR: 2
; COMPUTE_PGM_RSRC2:TRAP_HANDLER: 0
; COMPUTE_PGM_RSRC2:TGID_X_EN: 1
; COMPUTE_PGM_RSRC2:TGID_Y_EN: 0
; COMPUTE_PGM_RSRC2:TGID_Z_EN: 0
; COMPUTE_PGM_RSRC2:TIDIG_COMP_CNT: 0
	.section	.text._ZN9rocsolver6v33100L11gemm_kernelIdiPKdPKPdS6_S6_EEvT0_S7_S7_T1_bT2_lS7_S7_lbT3_lS7_S7_lS8_T4_lS7_S7_l,"axG",@progbits,_ZN9rocsolver6v33100L11gemm_kernelIdiPKdPKPdS6_S6_EEvT0_S7_S7_T1_bT2_lS7_S7_lbT3_lS7_S7_lS8_T4_lS7_S7_l,comdat
	.globl	_ZN9rocsolver6v33100L11gemm_kernelIdiPKdPKPdS6_S6_EEvT0_S7_S7_T1_bT2_lS7_S7_lbT3_lS7_S7_lS8_T4_lS7_S7_l ; -- Begin function _ZN9rocsolver6v33100L11gemm_kernelIdiPKdPKPdS6_S6_EEvT0_S7_S7_T1_bT2_lS7_S7_lbT3_lS7_S7_lS8_T4_lS7_S7_l
	.p2align	8
	.type	_ZN9rocsolver6v33100L11gemm_kernelIdiPKdPKPdS6_S6_EEvT0_S7_S7_T1_bT2_lS7_S7_lbT3_lS7_S7_lS8_T4_lS7_S7_l,@function
_ZN9rocsolver6v33100L11gemm_kernelIdiPKdPKPdS6_S6_EEvT0_S7_S7_T1_bT2_lS7_S7_lbT3_lS7_S7_lS8_T4_lS7_S7_l: ; @_ZN9rocsolver6v33100L11gemm_kernelIdiPKdPKPdS6_S6_EEvT0_S7_S7_T1_bT2_lS7_S7_lbT3_lS7_S7_lS8_T4_lS7_S7_l
; %bb.0:
	s_clause 0x1
	s_load_b32 s2, s[0:1], 0x9c
	s_load_b96 s[8:10], s[0:1], 0x0
	s_bfe_u32 s4, ttmp6, 0x4000c
	s_bfe_u32 s6, ttmp6, 0x40010
	s_and_b32 s5, ttmp7, 0xffff
	s_add_co_i32 s4, s4, 1
	s_add_co_i32 s6, s6, 1
	s_and_b32 s3, ttmp6, 15
	s_bfe_u32 s7, ttmp6, 0x40004
	s_mul_i32 s4, ttmp9, s4
	s_mul_i32 s6, s5, s6
	s_getreg_b32 s11, hwreg(HW_REG_IB_STS2, 6, 4)
	v_bfe_u32 v1, v0, 10, 10
	v_and_b32_e32 v0, 0x3ff, v0
	s_add_co_i32 s3, s3, s4
	s_add_co_i32 s7, s7, s6
	s_wait_kmcnt 0x0
	s_and_b32 s4, s2, 0xffff
	s_lshr_b32 s2, s2, 16
	s_cmp_eq_u32 s11, 0
	s_cselect_b32 s3, ttmp9, s3
	s_cselect_b32 s5, s5, s7
	v_mad_u32 v6, s3, s4, v0
	v_mad_u32 v7, s5, s2, v1
	s_delay_alu instid0(VALU_DEP_2) | instskip(NEXT) | instid1(VALU_DEP_2)
	v_cmp_gt_i32_e32 vcc_lo, s8, v6
	v_cmp_gt_i32_e64 s2, s9, v7
	s_and_b32 s2, vcc_lo, s2
	s_delay_alu instid0(SALU_CYCLE_1)
	s_and_saveexec_b32 s3, s2
	s_cbranch_execz .LBB6_6
; %bb.1:
	s_clause 0x2
	s_load_b64 s[2:3], s[0:1], 0x78
	s_load_b64 s[8:9], s[0:1], 0x10
	s_load_b128 s[4:7], s[0:1], 0x68
	s_bfe_u32 s12, ttmp6, 0x40014
	s_lshr_b32 s13, ttmp7, 16
	s_add_co_i32 s12, s12, 1
	s_bfe_u32 s14, ttmp6, 0x40008
	s_mul_i32 s12, s13, s12
	s_delay_alu instid0(SALU_CYCLE_1)
	s_add_co_i32 s14, s14, s12
	s_cmp_eq_u32 s11, 0
	s_cselect_b32 s16, s13, s14
	s_cmp_lt_i32 s10, 1
	s_cbranch_scc1 .LBB6_4
; %bb.2:
	s_clause 0x3
	s_load_b128 s[12:15], s[0:1], 0x48
	s_load_b128 s[20:23], s[0:1], 0x20
	s_load_b64 s[18:19], s[0:1], 0x58
	s_load_b64 s[24:25], s[0:1], 0x30
	v_mov_b64_e32 v[0:1], 0
	s_wait_kmcnt 0x0
	s_load_b64 s[26:27], s[12:13], s16 offset:0x0 scale_offset
	s_load_b64 s[28:29], s[20:21], s16 offset:0x0 scale_offset
	v_mul_lo_u32 v2, v7, s19
	v_mul_lo_u32 v4, v6, s24
	s_wait_xcnt 0x0
	s_lshl_b64 s[12:13], s[14:15], 3
	s_lshl_b64 s[14:15], s[22:23], 3
	s_ashr_i32 s19, s18, 31
	s_delay_alu instid0(VALU_DEP_1) | instskip(SKIP_3) | instid1(VALU_DEP_1)
	v_dual_ashrrev_i32 v3, 31, v2 :: v_dual_ashrrev_i32 v5, 31, v4
	s_wait_kmcnt 0x0
	s_add_nc_u64 s[12:13], s[26:27], s[12:13]
	s_add_nc_u64 s[14:15], s[28:29], s[14:15]
	v_lshl_add_u64 v[2:3], v[2:3], 3, s[12:13]
	v_lshl_add_u64 v[4:5], v[4:5], 3, s[14:15]
	s_ashr_i32 s15, s25, 31
	s_mov_b32 s14, s25
	s_lshl_b64 s[12:13], s[18:19], 3
	s_lshl_b64 s[14:15], s[14:15], 3
.LBB6_3:                                ; =>This Inner Loop Header: Depth=1
	flat_load_b64 v[8:9], v[4:5]
	flat_load_b64 v[10:11], v[2:3]
	s_wait_xcnt 0x0
	v_add_nc_u64_e32 v[2:3], s[12:13], v[2:3]
	v_add_nc_u64_e32 v[4:5], s[14:15], v[4:5]
	s_add_co_i32 s10, s10, -1
	s_delay_alu instid0(SALU_CYCLE_1)
	s_cmp_eq_u32 s10, 0
	s_wait_loadcnt_dscnt 0x0
	v_fmac_f64_e32 v[0:1], v[8:9], v[10:11]
	s_cbranch_scc0 .LBB6_3
	s_branch .LBB6_5
.LBB6_4:
	v_mov_b64_e32 v[0:1], 0
.LBB6_5:
	s_wait_kmcnt 0x0
	s_load_b64 s[10:11], s[8:9], 0x0
	s_load_b64 s[12:13], s[4:5], 0x0
	s_load_b64 s[14:15], s[6:7], s16 offset:0x0 scale_offset
                                        ; kill: killed $sgpr16
                                        ; kill: killed $sgpr4_sgpr5_sgpr6 killed $sgpr7
                                        ; kill: killed $sgpr8_sgpr9
	s_nop 0
	s_load_b64 s[0:1], s[0:1], 0x80
	s_wait_kmcnt 0x0
	v_mul_lo_u32 v2, v6, s0
	s_delay_alu instid0(VALU_DEP_1) | instskip(SKIP_1) | instid1(SALU_CYCLE_1)
	v_mad_u32 v4, v7, s1, v2
	s_lshl_b64 s[0:1], s[2:3], 3
	s_add_nc_u64 s[0:1], s[14:15], s[0:1]
	flat_load_b64 v[2:3], v4, s[0:1] scale_offset
	s_wait_loadcnt_dscnt 0x0
	v_mul_f64_e32 v[2:3], s[12:13], v[2:3]
	s_delay_alu instid0(VALU_DEP_1)
	v_fmac_f64_e32 v[2:3], s[10:11], v[0:1]
	flat_store_b64 v4, v[2:3], s[0:1] scale_offset
.LBB6_6:
	s_endpgm
	.section	.rodata,"a",@progbits
	.p2align	6, 0x0
	.amdhsa_kernel _ZN9rocsolver6v33100L11gemm_kernelIdiPKdPKPdS6_S6_EEvT0_S7_S7_T1_bT2_lS7_S7_lbT3_lS7_S7_lS8_T4_lS7_S7_l
		.amdhsa_group_segment_fixed_size 0
		.amdhsa_private_segment_fixed_size 0
		.amdhsa_kernarg_size 400
		.amdhsa_user_sgpr_count 2
		.amdhsa_user_sgpr_dispatch_ptr 0
		.amdhsa_user_sgpr_queue_ptr 0
		.amdhsa_user_sgpr_kernarg_segment_ptr 1
		.amdhsa_user_sgpr_dispatch_id 0
		.amdhsa_user_sgpr_kernarg_preload_length 0
		.amdhsa_user_sgpr_kernarg_preload_offset 0
		.amdhsa_user_sgpr_private_segment_size 0
		.amdhsa_wavefront_size32 1
		.amdhsa_uses_dynamic_stack 0
		.amdhsa_enable_private_segment 0
		.amdhsa_system_sgpr_workgroup_id_x 1
		.amdhsa_system_sgpr_workgroup_id_y 1
		.amdhsa_system_sgpr_workgroup_id_z 1
		.amdhsa_system_sgpr_workgroup_info 0
		.amdhsa_system_vgpr_workitem_id 1
		.amdhsa_next_free_vgpr 12
		.amdhsa_next_free_sgpr 30
		.amdhsa_named_barrier_count 0
		.amdhsa_reserve_vcc 1
		.amdhsa_float_round_mode_32 0
		.amdhsa_float_round_mode_16_64 0
		.amdhsa_float_denorm_mode_32 3
		.amdhsa_float_denorm_mode_16_64 3
		.amdhsa_fp16_overflow 0
		.amdhsa_memory_ordered 1
		.amdhsa_forward_progress 1
		.amdhsa_inst_pref_size 5
		.amdhsa_round_robin_scheduling 0
		.amdhsa_exception_fp_ieee_invalid_op 0
		.amdhsa_exception_fp_denorm_src 0
		.amdhsa_exception_fp_ieee_div_zero 0
		.amdhsa_exception_fp_ieee_overflow 0
		.amdhsa_exception_fp_ieee_underflow 0
		.amdhsa_exception_fp_ieee_inexact 0
		.amdhsa_exception_int_div_zero 0
	.end_amdhsa_kernel
	.section	.text._ZN9rocsolver6v33100L11gemm_kernelIdiPKdPKPdS6_S6_EEvT0_S7_S7_T1_bT2_lS7_S7_lbT3_lS7_S7_lS8_T4_lS7_S7_l,"axG",@progbits,_ZN9rocsolver6v33100L11gemm_kernelIdiPKdPKPdS6_S6_EEvT0_S7_S7_T1_bT2_lS7_S7_lbT3_lS7_S7_lS8_T4_lS7_S7_l,comdat
.Lfunc_end6:
	.size	_ZN9rocsolver6v33100L11gemm_kernelIdiPKdPKPdS6_S6_EEvT0_S7_S7_T1_bT2_lS7_S7_lbT3_lS7_S7_lS8_T4_lS7_S7_l, .Lfunc_end6-_ZN9rocsolver6v33100L11gemm_kernelIdiPKdPKPdS6_S6_EEvT0_S7_S7_T1_bT2_lS7_S7_lbT3_lS7_S7_lS8_T4_lS7_S7_l
                                        ; -- End function
	.set _ZN9rocsolver6v33100L11gemm_kernelIdiPKdPKPdS6_S6_EEvT0_S7_S7_T1_bT2_lS7_S7_lbT3_lS7_S7_lS8_T4_lS7_S7_l.num_vgpr, 12
	.set _ZN9rocsolver6v33100L11gemm_kernelIdiPKdPKPdS6_S6_EEvT0_S7_S7_T1_bT2_lS7_S7_lbT3_lS7_S7_lS8_T4_lS7_S7_l.num_agpr, 0
	.set _ZN9rocsolver6v33100L11gemm_kernelIdiPKdPKPdS6_S6_EEvT0_S7_S7_T1_bT2_lS7_S7_lbT3_lS7_S7_lS8_T4_lS7_S7_l.numbered_sgpr, 30
	.set _ZN9rocsolver6v33100L11gemm_kernelIdiPKdPKPdS6_S6_EEvT0_S7_S7_T1_bT2_lS7_S7_lbT3_lS7_S7_lS8_T4_lS7_S7_l.num_named_barrier, 0
	.set _ZN9rocsolver6v33100L11gemm_kernelIdiPKdPKPdS6_S6_EEvT0_S7_S7_T1_bT2_lS7_S7_lbT3_lS7_S7_lS8_T4_lS7_S7_l.private_seg_size, 0
	.set _ZN9rocsolver6v33100L11gemm_kernelIdiPKdPKPdS6_S6_EEvT0_S7_S7_T1_bT2_lS7_S7_lbT3_lS7_S7_lS8_T4_lS7_S7_l.uses_vcc, 1
	.set _ZN9rocsolver6v33100L11gemm_kernelIdiPKdPKPdS6_S6_EEvT0_S7_S7_T1_bT2_lS7_S7_lbT3_lS7_S7_lS8_T4_lS7_S7_l.uses_flat_scratch, 0
	.set _ZN9rocsolver6v33100L11gemm_kernelIdiPKdPKPdS6_S6_EEvT0_S7_S7_T1_bT2_lS7_S7_lbT3_lS7_S7_lS8_T4_lS7_S7_l.has_dyn_sized_stack, 0
	.set _ZN9rocsolver6v33100L11gemm_kernelIdiPKdPKPdS6_S6_EEvT0_S7_S7_T1_bT2_lS7_S7_lbT3_lS7_S7_lS8_T4_lS7_S7_l.has_recursion, 0
	.set _ZN9rocsolver6v33100L11gemm_kernelIdiPKdPKPdS6_S6_EEvT0_S7_S7_T1_bT2_lS7_S7_lbT3_lS7_S7_lS8_T4_lS7_S7_l.has_indirect_call, 0
	.section	.AMDGPU.csdata,"",@progbits
; Kernel info:
; codeLenInByte = 592
; TotalNumSgprs: 32
; NumVgprs: 12
; ScratchSize: 0
; MemoryBound: 0
; FloatMode: 240
; IeeeMode: 1
; LDSByteSize: 0 bytes/workgroup (compile time only)
; SGPRBlocks: 0
; VGPRBlocks: 0
; NumSGPRsForWavesPerEU: 32
; NumVGPRsForWavesPerEU: 12
; NamedBarCnt: 0
; Occupancy: 16
; WaveLimiterHint : 1
; COMPUTE_PGM_RSRC2:SCRATCH_EN: 0
; COMPUTE_PGM_RSRC2:USER_SGPR: 2
; COMPUTE_PGM_RSRC2:TRAP_HANDLER: 0
; COMPUTE_PGM_RSRC2:TGID_X_EN: 1
; COMPUTE_PGM_RSRC2:TGID_Y_EN: 1
; COMPUTE_PGM_RSRC2:TGID_Z_EN: 1
; COMPUTE_PGM_RSRC2:TIDIG_COMP_CNT: 1
	.section	.text._ZN9rocsolver6v33100L11gemm_kernelIdidPKPdS4_S4_EEvT0_S5_S5_T1_bT2_lS5_S5_lbT3_lS5_S5_lS6_T4_lS5_S5_l,"axG",@progbits,_ZN9rocsolver6v33100L11gemm_kernelIdidPKPdS4_S4_EEvT0_S5_S5_T1_bT2_lS5_S5_lbT3_lS5_S5_lS6_T4_lS5_S5_l,comdat
	.globl	_ZN9rocsolver6v33100L11gemm_kernelIdidPKPdS4_S4_EEvT0_S5_S5_T1_bT2_lS5_S5_lbT3_lS5_S5_lS6_T4_lS5_S5_l ; -- Begin function _ZN9rocsolver6v33100L11gemm_kernelIdidPKPdS4_S4_EEvT0_S5_S5_T1_bT2_lS5_S5_lbT3_lS5_S5_lS6_T4_lS5_S5_l
	.p2align	8
	.type	_ZN9rocsolver6v33100L11gemm_kernelIdidPKPdS4_S4_EEvT0_S5_S5_T1_bT2_lS5_S5_lbT3_lS5_S5_lS6_T4_lS5_S5_l,@function
_ZN9rocsolver6v33100L11gemm_kernelIdidPKPdS4_S4_EEvT0_S5_S5_T1_bT2_lS5_S5_lbT3_lS5_S5_lS6_T4_lS5_S5_l: ; @_ZN9rocsolver6v33100L11gemm_kernelIdidPKPdS4_S4_EEvT0_S5_S5_T1_bT2_lS5_S5_lbT3_lS5_S5_lS6_T4_lS5_S5_l
; %bb.0:
	s_clause 0x1
	s_load_b32 s2, s[0:1], 0x9c
	s_load_b96 s[8:10], s[0:1], 0x0
	s_bfe_u32 s4, ttmp6, 0x4000c
	s_bfe_u32 s6, ttmp6, 0x40010
	s_and_b32 s5, ttmp7, 0xffff
	s_add_co_i32 s4, s4, 1
	s_add_co_i32 s6, s6, 1
	s_and_b32 s3, ttmp6, 15
	s_bfe_u32 s7, ttmp6, 0x40004
	s_mul_i32 s4, ttmp9, s4
	s_mul_i32 s6, s5, s6
	s_getreg_b32 s11, hwreg(HW_REG_IB_STS2, 6, 4)
	v_bfe_u32 v1, v0, 10, 10
	v_and_b32_e32 v0, 0x3ff, v0
	s_add_co_i32 s3, s3, s4
	s_add_co_i32 s7, s7, s6
	s_wait_kmcnt 0x0
	s_and_b32 s4, s2, 0xffff
	s_lshr_b32 s2, s2, 16
	s_cmp_eq_u32 s11, 0
	s_cselect_b32 s3, ttmp9, s3
	s_cselect_b32 s5, s5, s7
	v_mad_u32 v6, s3, s4, v0
	v_mad_u32 v7, s5, s2, v1
	s_delay_alu instid0(VALU_DEP_2) | instskip(NEXT) | instid1(VALU_DEP_2)
	v_cmp_gt_i32_e32 vcc_lo, s8, v6
	v_cmp_gt_i32_e64 s2, s9, v7
	s_and_b32 s2, vcc_lo, s2
	s_delay_alu instid0(SALU_CYCLE_1)
	s_and_saveexec_b32 s3, s2
	s_cbranch_execz .LBB7_6
; %bb.1:
	s_clause 0x1
	s_load_b128 s[4:7], s[0:1], 0x68
	s_load_b64 s[2:3], s[0:1], 0x78
	s_bfe_u32 s8, ttmp6, 0x40014
	s_lshr_b32 s9, ttmp7, 16
	s_add_co_i32 s8, s8, 1
	s_bfe_u32 s12, ttmp6, 0x40008
	s_mul_i32 s8, s9, s8
	s_delay_alu instid0(SALU_CYCLE_1)
	s_add_co_i32 s12, s12, s8
	s_cmp_eq_u32 s11, 0
	s_cselect_b32 s11, s9, s12
	s_cmp_lt_i32 s10, 1
	s_cbranch_scc1 .LBB7_4
; %bb.2:
	s_clause 0x3
	s_load_b128 s[12:15], s[0:1], 0x48
	s_load_b128 s[16:19], s[0:1], 0x20
	s_load_b64 s[8:9], s[0:1], 0x58
	s_load_b64 s[20:21], s[0:1], 0x30
	v_mov_b64_e32 v[0:1], 0
	s_wait_kmcnt 0x0
	s_load_b64 s[22:23], s[12:13], s11 offset:0x0 scale_offset
	s_load_b64 s[24:25], s[16:17], s11 offset:0x0 scale_offset
	v_mul_lo_u32 v2, v7, s9
	v_mul_lo_u32 v4, v6, s20
	s_wait_xcnt 0x0
	s_lshl_b64 s[12:13], s[14:15], 3
	s_lshl_b64 s[14:15], s[18:19], 3
	s_ashr_i32 s9, s8, 31
	s_delay_alu instid0(SALU_CYCLE_1) | instskip(NEXT) | instid1(VALU_DEP_1)
	s_lshl_b64 s[8:9], s[8:9], 3
	v_dual_ashrrev_i32 v3, 31, v2 :: v_dual_ashrrev_i32 v5, 31, v4
	s_wait_kmcnt 0x0
	s_add_nc_u64 s[12:13], s[22:23], s[12:13]
	s_add_nc_u64 s[14:15], s[24:25], s[14:15]
	s_delay_alu instid0(VALU_DEP_1) | instskip(SKIP_3) | instid1(SALU_CYCLE_1)
	v_lshl_add_u64 v[2:3], v[2:3], 3, s[12:13]
	v_lshl_add_u64 v[4:5], v[4:5], 3, s[14:15]
	s_ashr_i32 s13, s21, 31
	s_mov_b32 s12, s21
	s_lshl_b64 s[12:13], s[12:13], 3
.LBB7_3:                                ; =>This Inner Loop Header: Depth=1
	flat_load_b64 v[8:9], v[4:5]
	flat_load_b64 v[10:11], v[2:3]
	s_wait_xcnt 0x0
	v_add_nc_u64_e32 v[2:3], s[8:9], v[2:3]
	v_add_nc_u64_e32 v[4:5], s[12:13], v[4:5]
	s_add_co_i32 s10, s10, -1
	s_delay_alu instid0(SALU_CYCLE_1)
	s_cmp_eq_u32 s10, 0
	s_wait_loadcnt_dscnt 0x0
	v_fmac_f64_e32 v[0:1], v[8:9], v[10:11]
	s_cbranch_scc0 .LBB7_3
	s_branch .LBB7_5
.LBB7_4:
	v_mov_b64_e32 v[0:1], 0
.LBB7_5:
	s_wait_kmcnt 0x0
	s_load_b64 s[6:7], s[6:7], s11 offset:0x0 scale_offset
	s_nop 0
	s_load_b64 s[8:9], s[0:1], 0x80
	s_lshl_b64 s[2:3], s[2:3], 3
	s_wait_xcnt 0x0
	s_load_b64 s[0:1], s[0:1], 0x10
	s_wait_kmcnt 0x0
	s_add_nc_u64 s[2:3], s[6:7], s[2:3]
	v_mul_lo_u32 v2, v6, s8
	s_delay_alu instid0(VALU_DEP_1) | instskip(SKIP_3) | instid1(VALU_DEP_1)
	v_mad_u32 v4, v7, s9, v2
	flat_load_b64 v[2:3], v4, s[2:3] scale_offset
	s_wait_loadcnt_dscnt 0x0
	v_mul_f64_e32 v[2:3], s[4:5], v[2:3]
	v_fmac_f64_e32 v[2:3], s[0:1], v[0:1]
	flat_store_b64 v4, v[2:3], s[2:3] scale_offset
.LBB7_6:
	s_endpgm
	.section	.rodata,"a",@progbits
	.p2align	6, 0x0
	.amdhsa_kernel _ZN9rocsolver6v33100L11gemm_kernelIdidPKPdS4_S4_EEvT0_S5_S5_T1_bT2_lS5_S5_lbT3_lS5_S5_lS6_T4_lS5_S5_l
		.amdhsa_group_segment_fixed_size 0
		.amdhsa_private_segment_fixed_size 0
		.amdhsa_kernarg_size 400
		.amdhsa_user_sgpr_count 2
		.amdhsa_user_sgpr_dispatch_ptr 0
		.amdhsa_user_sgpr_queue_ptr 0
		.amdhsa_user_sgpr_kernarg_segment_ptr 1
		.amdhsa_user_sgpr_dispatch_id 0
		.amdhsa_user_sgpr_kernarg_preload_length 0
		.amdhsa_user_sgpr_kernarg_preload_offset 0
		.amdhsa_user_sgpr_private_segment_size 0
		.amdhsa_wavefront_size32 1
		.amdhsa_uses_dynamic_stack 0
		.amdhsa_enable_private_segment 0
		.amdhsa_system_sgpr_workgroup_id_x 1
		.amdhsa_system_sgpr_workgroup_id_y 1
		.amdhsa_system_sgpr_workgroup_id_z 1
		.amdhsa_system_sgpr_workgroup_info 0
		.amdhsa_system_vgpr_workitem_id 1
		.amdhsa_next_free_vgpr 12
		.amdhsa_next_free_sgpr 26
		.amdhsa_named_barrier_count 0
		.amdhsa_reserve_vcc 1
		.amdhsa_float_round_mode_32 0
		.amdhsa_float_round_mode_16_64 0
		.amdhsa_float_denorm_mode_32 3
		.amdhsa_float_denorm_mode_16_64 3
		.amdhsa_fp16_overflow 0
		.amdhsa_memory_ordered 1
		.amdhsa_forward_progress 1
		.amdhsa_inst_pref_size 5
		.amdhsa_round_robin_scheduling 0
		.amdhsa_exception_fp_ieee_invalid_op 0
		.amdhsa_exception_fp_denorm_src 0
		.amdhsa_exception_fp_ieee_div_zero 0
		.amdhsa_exception_fp_ieee_overflow 0
		.amdhsa_exception_fp_ieee_underflow 0
		.amdhsa_exception_fp_ieee_inexact 0
		.amdhsa_exception_int_div_zero 0
	.end_amdhsa_kernel
	.section	.text._ZN9rocsolver6v33100L11gemm_kernelIdidPKPdS4_S4_EEvT0_S5_S5_T1_bT2_lS5_S5_lbT3_lS5_S5_lS6_T4_lS5_S5_l,"axG",@progbits,_ZN9rocsolver6v33100L11gemm_kernelIdidPKPdS4_S4_EEvT0_S5_S5_T1_bT2_lS5_S5_lbT3_lS5_S5_lS6_T4_lS5_S5_l,comdat
.Lfunc_end7:
	.size	_ZN9rocsolver6v33100L11gemm_kernelIdidPKPdS4_S4_EEvT0_S5_S5_T1_bT2_lS5_S5_lbT3_lS5_S5_lS6_T4_lS5_S5_l, .Lfunc_end7-_ZN9rocsolver6v33100L11gemm_kernelIdidPKPdS4_S4_EEvT0_S5_S5_T1_bT2_lS5_S5_lbT3_lS5_S5_lS6_T4_lS5_S5_l
                                        ; -- End function
	.set _ZN9rocsolver6v33100L11gemm_kernelIdidPKPdS4_S4_EEvT0_S5_S5_T1_bT2_lS5_S5_lbT3_lS5_S5_lS6_T4_lS5_S5_l.num_vgpr, 12
	.set _ZN9rocsolver6v33100L11gemm_kernelIdidPKPdS4_S4_EEvT0_S5_S5_T1_bT2_lS5_S5_lbT3_lS5_S5_lS6_T4_lS5_S5_l.num_agpr, 0
	.set _ZN9rocsolver6v33100L11gemm_kernelIdidPKPdS4_S4_EEvT0_S5_S5_T1_bT2_lS5_S5_lbT3_lS5_S5_lS6_T4_lS5_S5_l.numbered_sgpr, 26
	.set _ZN9rocsolver6v33100L11gemm_kernelIdidPKPdS4_S4_EEvT0_S5_S5_T1_bT2_lS5_S5_lbT3_lS5_S5_lS6_T4_lS5_S5_l.num_named_barrier, 0
	.set _ZN9rocsolver6v33100L11gemm_kernelIdidPKPdS4_S4_EEvT0_S5_S5_T1_bT2_lS5_S5_lbT3_lS5_S5_lS6_T4_lS5_S5_l.private_seg_size, 0
	.set _ZN9rocsolver6v33100L11gemm_kernelIdidPKPdS4_S4_EEvT0_S5_S5_T1_bT2_lS5_S5_lbT3_lS5_S5_lS6_T4_lS5_S5_l.uses_vcc, 1
	.set _ZN9rocsolver6v33100L11gemm_kernelIdidPKPdS4_S4_EEvT0_S5_S5_T1_bT2_lS5_S5_lbT3_lS5_S5_lS6_T4_lS5_S5_l.uses_flat_scratch, 0
	.set _ZN9rocsolver6v33100L11gemm_kernelIdidPKPdS4_S4_EEvT0_S5_S5_T1_bT2_lS5_S5_lbT3_lS5_S5_lS6_T4_lS5_S5_l.has_dyn_sized_stack, 0
	.set _ZN9rocsolver6v33100L11gemm_kernelIdidPKPdS4_S4_EEvT0_S5_S5_T1_bT2_lS5_S5_lbT3_lS5_S5_lS6_T4_lS5_S5_l.has_recursion, 0
	.set _ZN9rocsolver6v33100L11gemm_kernelIdidPKPdS4_S4_EEvT0_S5_S5_T1_bT2_lS5_S5_lbT3_lS5_S5_lS6_T4_lS5_S5_l.has_indirect_call, 0
	.section	.AMDGPU.csdata,"",@progbits
; Kernel info:
; codeLenInByte = 580
; TotalNumSgprs: 28
; NumVgprs: 12
; ScratchSize: 0
; MemoryBound: 0
; FloatMode: 240
; IeeeMode: 1
; LDSByteSize: 0 bytes/workgroup (compile time only)
; SGPRBlocks: 0
; VGPRBlocks: 0
; NumSGPRsForWavesPerEU: 28
; NumVGPRsForWavesPerEU: 12
; NamedBarCnt: 0
; Occupancy: 16
; WaveLimiterHint : 1
; COMPUTE_PGM_RSRC2:SCRATCH_EN: 0
; COMPUTE_PGM_RSRC2:USER_SGPR: 2
; COMPUTE_PGM_RSRC2:TRAP_HANDLER: 0
; COMPUTE_PGM_RSRC2:TGID_X_EN: 1
; COMPUTE_PGM_RSRC2:TGID_Y_EN: 1
; COMPUTE_PGM_RSRC2:TGID_Z_EN: 1
; COMPUTE_PGM_RSRC2:TIDIG_COMP_CNT: 1
	.section	.text._ZN9rocsolver6v33100L9get_arrayIdiEEvPPT_S3_lT0_,"axG",@progbits,_ZN9rocsolver6v33100L9get_arrayIdiEEvPPT_S3_lT0_,comdat
	.globl	_ZN9rocsolver6v33100L9get_arrayIdiEEvPPT_S3_lT0_ ; -- Begin function _ZN9rocsolver6v33100L9get_arrayIdiEEvPPT_S3_lT0_
	.p2align	8
	.type	_ZN9rocsolver6v33100L9get_arrayIdiEEvPPT_S3_lT0_,@function
_ZN9rocsolver6v33100L9get_arrayIdiEEvPPT_S3_lT0_: ; @_ZN9rocsolver6v33100L9get_arrayIdiEEvPPT_S3_lT0_
; %bb.0:
	s_clause 0x1
	s_load_b32 s2, s[0:1], 0x2c
	s_load_b32 s3, s[0:1], 0x18
	s_bfe_u32 s4, ttmp6, 0x4000c
	s_and_b32 s5, ttmp6, 15
	s_add_co_i32 s4, s4, 1
	s_getreg_b32 s6, hwreg(HW_REG_IB_STS2, 6, 4)
	s_mul_i32 s4, ttmp9, s4
	s_delay_alu instid0(SALU_CYCLE_1) | instskip(SKIP_4) | instid1(SALU_CYCLE_1)
	s_add_co_i32 s5, s5, s4
	s_wait_kmcnt 0x0
	s_and_b32 s2, s2, 0xffff
	s_cmp_eq_u32 s6, 0
	s_cselect_b32 s4, ttmp9, s5
	v_mad_u32 v0, s4, s2, v0
	s_mov_b32 s2, exec_lo
	s_delay_alu instid0(VALU_DEP_1)
	v_cmpx_gt_i32_e64 s3, v0
	s_cbranch_execz .LBB8_2
; %bb.1:
	s_load_b64 s[2:3], s[0:1], 0x10
	v_ashrrev_i32_e32 v1, 31, v0
	s_wait_kmcnt 0x0
	s_delay_alu instid0(VALU_DEP_1) | instskip(SKIP_2) | instid1(VALU_DEP_1)
	v_mul_u64_e32 v[2:3], s[2:3], v[0:1]
	s_load_b128 s[0:3], s[0:1], 0x0
	s_wait_kmcnt 0x0
	v_lshl_add_u64 v[2:3], v[2:3], 3, s[2:3]
	global_store_b64 v0, v[2:3], s[0:1] scale_offset
.LBB8_2:
	s_endpgm
	.section	.rodata,"a",@progbits
	.p2align	6, 0x0
	.amdhsa_kernel _ZN9rocsolver6v33100L9get_arrayIdiEEvPPT_S3_lT0_
		.amdhsa_group_segment_fixed_size 0
		.amdhsa_private_segment_fixed_size 0
		.amdhsa_kernarg_size 288
		.amdhsa_user_sgpr_count 2
		.amdhsa_user_sgpr_dispatch_ptr 0
		.amdhsa_user_sgpr_queue_ptr 0
		.amdhsa_user_sgpr_kernarg_segment_ptr 1
		.amdhsa_user_sgpr_dispatch_id 0
		.amdhsa_user_sgpr_kernarg_preload_length 0
		.amdhsa_user_sgpr_kernarg_preload_offset 0
		.amdhsa_user_sgpr_private_segment_size 0
		.amdhsa_wavefront_size32 1
		.amdhsa_uses_dynamic_stack 0
		.amdhsa_enable_private_segment 0
		.amdhsa_system_sgpr_workgroup_id_x 1
		.amdhsa_system_sgpr_workgroup_id_y 0
		.amdhsa_system_sgpr_workgroup_id_z 0
		.amdhsa_system_sgpr_workgroup_info 0
		.amdhsa_system_vgpr_workitem_id 0
		.amdhsa_next_free_vgpr 4
		.amdhsa_next_free_sgpr 7
		.amdhsa_named_barrier_count 0
		.amdhsa_reserve_vcc 0
		.amdhsa_float_round_mode_32 0
		.amdhsa_float_round_mode_16_64 0
		.amdhsa_float_denorm_mode_32 3
		.amdhsa_float_denorm_mode_16_64 3
		.amdhsa_fp16_overflow 0
		.amdhsa_memory_ordered 1
		.amdhsa_forward_progress 1
		.amdhsa_inst_pref_size 2
		.amdhsa_round_robin_scheduling 0
		.amdhsa_exception_fp_ieee_invalid_op 0
		.amdhsa_exception_fp_denorm_src 0
		.amdhsa_exception_fp_ieee_div_zero 0
		.amdhsa_exception_fp_ieee_overflow 0
		.amdhsa_exception_fp_ieee_underflow 0
		.amdhsa_exception_fp_ieee_inexact 0
		.amdhsa_exception_int_div_zero 0
	.end_amdhsa_kernel
	.section	.text._ZN9rocsolver6v33100L9get_arrayIdiEEvPPT_S3_lT0_,"axG",@progbits,_ZN9rocsolver6v33100L9get_arrayIdiEEvPPT_S3_lT0_,comdat
.Lfunc_end8:
	.size	_ZN9rocsolver6v33100L9get_arrayIdiEEvPPT_S3_lT0_, .Lfunc_end8-_ZN9rocsolver6v33100L9get_arrayIdiEEvPPT_S3_lT0_
                                        ; -- End function
	.set _ZN9rocsolver6v33100L9get_arrayIdiEEvPPT_S3_lT0_.num_vgpr, 4
	.set _ZN9rocsolver6v33100L9get_arrayIdiEEvPPT_S3_lT0_.num_agpr, 0
	.set _ZN9rocsolver6v33100L9get_arrayIdiEEvPPT_S3_lT0_.numbered_sgpr, 7
	.set _ZN9rocsolver6v33100L9get_arrayIdiEEvPPT_S3_lT0_.num_named_barrier, 0
	.set _ZN9rocsolver6v33100L9get_arrayIdiEEvPPT_S3_lT0_.private_seg_size, 0
	.set _ZN9rocsolver6v33100L9get_arrayIdiEEvPPT_S3_lT0_.uses_vcc, 0
	.set _ZN9rocsolver6v33100L9get_arrayIdiEEvPPT_S3_lT0_.uses_flat_scratch, 0
	.set _ZN9rocsolver6v33100L9get_arrayIdiEEvPPT_S3_lT0_.has_dyn_sized_stack, 0
	.set _ZN9rocsolver6v33100L9get_arrayIdiEEvPPT_S3_lT0_.has_recursion, 0
	.set _ZN9rocsolver6v33100L9get_arrayIdiEEvPPT_S3_lT0_.has_indirect_call, 0
	.section	.AMDGPU.csdata,"",@progbits
; Kernel info:
; codeLenInByte = 160
; TotalNumSgprs: 7
; NumVgprs: 4
; ScratchSize: 0
; MemoryBound: 0
; FloatMode: 240
; IeeeMode: 1
; LDSByteSize: 0 bytes/workgroup (compile time only)
; SGPRBlocks: 0
; VGPRBlocks: 0
; NumSGPRsForWavesPerEU: 7
; NumVGPRsForWavesPerEU: 4
; NamedBarCnt: 0
; Occupancy: 16
; WaveLimiterHint : 0
; COMPUTE_PGM_RSRC2:SCRATCH_EN: 0
; COMPUTE_PGM_RSRC2:USER_SGPR: 2
; COMPUTE_PGM_RSRC2:TRAP_HANDLER: 0
; COMPUTE_PGM_RSRC2:TGID_X_EN: 1
; COMPUTE_PGM_RSRC2:TGID_Y_EN: 0
; COMPUTE_PGM_RSRC2:TGID_Z_EN: 0
; COMPUTE_PGM_RSRC2:TIDIG_COMP_CNT: 0
	.section	.text._ZN9rocsolver6v33100L16mfma_gemm_kernelIdiPKdPdPKS4_S6_EEv18rocblas_operation_S7_T0_S8_S8_T1_T2_lS8_S8_lT3_lS8_S8_lS9_T4_lS8_S8_l,"axG",@progbits,_ZN9rocsolver6v33100L16mfma_gemm_kernelIdiPKdPdPKS4_S6_EEv18rocblas_operation_S7_T0_S8_S8_T1_T2_lS8_S8_lT3_lS8_S8_lS9_T4_lS8_S8_l,comdat
	.globl	_ZN9rocsolver6v33100L16mfma_gemm_kernelIdiPKdPdPKS4_S6_EEv18rocblas_operation_S7_T0_S8_S8_T1_T2_lS8_S8_lT3_lS8_S8_lS9_T4_lS8_S8_l ; -- Begin function _ZN9rocsolver6v33100L16mfma_gemm_kernelIdiPKdPdPKS4_S6_EEv18rocblas_operation_S7_T0_S8_S8_T1_T2_lS8_S8_lT3_lS8_S8_lS9_T4_lS8_S8_l
	.p2align	8
	.type	_ZN9rocsolver6v33100L16mfma_gemm_kernelIdiPKdPdPKS4_S6_EEv18rocblas_operation_S7_T0_S8_S8_T1_T2_lS8_S8_lT3_lS8_S8_lS9_T4_lS8_S8_l,@function
_ZN9rocsolver6v33100L16mfma_gemm_kernelIdiPKdPdPKS4_S6_EEv18rocblas_operation_S7_T0_S8_S8_T1_T2_lS8_S8_lT3_lS8_S8_lS9_T4_lS8_S8_l: ; @_ZN9rocsolver6v33100L16mfma_gemm_kernelIdiPKdPdPKS4_S6_EEv18rocblas_operation_S7_T0_S8_S8_T1_T2_lS8_S8_lT3_lS8_S8_lS9_T4_lS8_S8_l
; %bb.0:
	s_endpgm
	.section	.rodata,"a",@progbits
	.p2align	6, 0x0
	.amdhsa_kernel _ZN9rocsolver6v33100L16mfma_gemm_kernelIdiPKdPdPKS4_S6_EEv18rocblas_operation_S7_T0_S8_S8_T1_T2_lS8_S8_lT3_lS8_S8_lS9_T4_lS8_S8_l
		.amdhsa_group_segment_fixed_size 0
		.amdhsa_private_segment_fixed_size 0
		.amdhsa_kernarg_size 136
		.amdhsa_user_sgpr_count 2
		.amdhsa_user_sgpr_dispatch_ptr 0
		.amdhsa_user_sgpr_queue_ptr 0
		.amdhsa_user_sgpr_kernarg_segment_ptr 1
		.amdhsa_user_sgpr_dispatch_id 0
		.amdhsa_user_sgpr_kernarg_preload_length 0
		.amdhsa_user_sgpr_kernarg_preload_offset 0
		.amdhsa_user_sgpr_private_segment_size 0
		.amdhsa_wavefront_size32 1
		.amdhsa_uses_dynamic_stack 0
		.amdhsa_enable_private_segment 0
		.amdhsa_system_sgpr_workgroup_id_x 1
		.amdhsa_system_sgpr_workgroup_id_y 0
		.amdhsa_system_sgpr_workgroup_id_z 0
		.amdhsa_system_sgpr_workgroup_info 0
		.amdhsa_system_vgpr_workitem_id 0
		.amdhsa_next_free_vgpr 1
		.amdhsa_next_free_sgpr 1
		.amdhsa_named_barrier_count 0
		.amdhsa_reserve_vcc 0
		.amdhsa_float_round_mode_32 0
		.amdhsa_float_round_mode_16_64 0
		.amdhsa_float_denorm_mode_32 3
		.amdhsa_float_denorm_mode_16_64 3
		.amdhsa_fp16_overflow 0
		.amdhsa_memory_ordered 1
		.amdhsa_forward_progress 1
		.amdhsa_inst_pref_size 1
		.amdhsa_round_robin_scheduling 0
		.amdhsa_exception_fp_ieee_invalid_op 0
		.amdhsa_exception_fp_denorm_src 0
		.amdhsa_exception_fp_ieee_div_zero 0
		.amdhsa_exception_fp_ieee_overflow 0
		.amdhsa_exception_fp_ieee_underflow 0
		.amdhsa_exception_fp_ieee_inexact 0
		.amdhsa_exception_int_div_zero 0
	.end_amdhsa_kernel
	.section	.text._ZN9rocsolver6v33100L16mfma_gemm_kernelIdiPKdPdPKS4_S6_EEv18rocblas_operation_S7_T0_S8_S8_T1_T2_lS8_S8_lT3_lS8_S8_lS9_T4_lS8_S8_l,"axG",@progbits,_ZN9rocsolver6v33100L16mfma_gemm_kernelIdiPKdPdPKS4_S6_EEv18rocblas_operation_S7_T0_S8_S8_T1_T2_lS8_S8_lT3_lS8_S8_lS9_T4_lS8_S8_l,comdat
.Lfunc_end9:
	.size	_ZN9rocsolver6v33100L16mfma_gemm_kernelIdiPKdPdPKS4_S6_EEv18rocblas_operation_S7_T0_S8_S8_T1_T2_lS8_S8_lT3_lS8_S8_lS9_T4_lS8_S8_l, .Lfunc_end9-_ZN9rocsolver6v33100L16mfma_gemm_kernelIdiPKdPdPKS4_S6_EEv18rocblas_operation_S7_T0_S8_S8_T1_T2_lS8_S8_lT3_lS8_S8_lS9_T4_lS8_S8_l
                                        ; -- End function
	.set _ZN9rocsolver6v33100L16mfma_gemm_kernelIdiPKdPdPKS4_S6_EEv18rocblas_operation_S7_T0_S8_S8_T1_T2_lS8_S8_lT3_lS8_S8_lS9_T4_lS8_S8_l.num_vgpr, 0
	.set _ZN9rocsolver6v33100L16mfma_gemm_kernelIdiPKdPdPKS4_S6_EEv18rocblas_operation_S7_T0_S8_S8_T1_T2_lS8_S8_lT3_lS8_S8_lS9_T4_lS8_S8_l.num_agpr, 0
	.set _ZN9rocsolver6v33100L16mfma_gemm_kernelIdiPKdPdPKS4_S6_EEv18rocblas_operation_S7_T0_S8_S8_T1_T2_lS8_S8_lT3_lS8_S8_lS9_T4_lS8_S8_l.numbered_sgpr, 0
	.set _ZN9rocsolver6v33100L16mfma_gemm_kernelIdiPKdPdPKS4_S6_EEv18rocblas_operation_S7_T0_S8_S8_T1_T2_lS8_S8_lT3_lS8_S8_lS9_T4_lS8_S8_l.num_named_barrier, 0
	.set _ZN9rocsolver6v33100L16mfma_gemm_kernelIdiPKdPdPKS4_S6_EEv18rocblas_operation_S7_T0_S8_S8_T1_T2_lS8_S8_lT3_lS8_S8_lS9_T4_lS8_S8_l.private_seg_size, 0
	.set _ZN9rocsolver6v33100L16mfma_gemm_kernelIdiPKdPdPKS4_S6_EEv18rocblas_operation_S7_T0_S8_S8_T1_T2_lS8_S8_lT3_lS8_S8_lS9_T4_lS8_S8_l.uses_vcc, 0
	.set _ZN9rocsolver6v33100L16mfma_gemm_kernelIdiPKdPdPKS4_S6_EEv18rocblas_operation_S7_T0_S8_S8_T1_T2_lS8_S8_lT3_lS8_S8_lS9_T4_lS8_S8_l.uses_flat_scratch, 0
	.set _ZN9rocsolver6v33100L16mfma_gemm_kernelIdiPKdPdPKS4_S6_EEv18rocblas_operation_S7_T0_S8_S8_T1_T2_lS8_S8_lT3_lS8_S8_lS9_T4_lS8_S8_l.has_dyn_sized_stack, 0
	.set _ZN9rocsolver6v33100L16mfma_gemm_kernelIdiPKdPdPKS4_S6_EEv18rocblas_operation_S7_T0_S8_S8_T1_T2_lS8_S8_lT3_lS8_S8_lS9_T4_lS8_S8_l.has_recursion, 0
	.set _ZN9rocsolver6v33100L16mfma_gemm_kernelIdiPKdPdPKS4_S6_EEv18rocblas_operation_S7_T0_S8_S8_T1_T2_lS8_S8_lT3_lS8_S8_lS9_T4_lS8_S8_l.has_indirect_call, 0
	.section	.AMDGPU.csdata,"",@progbits
; Kernel info:
; codeLenInByte = 4
; TotalNumSgprs: 0
; NumVgprs: 0
; ScratchSize: 0
; MemoryBound: 0
; FloatMode: 240
; IeeeMode: 1
; LDSByteSize: 0 bytes/workgroup (compile time only)
; SGPRBlocks: 0
; VGPRBlocks: 0
; NumSGPRsForWavesPerEU: 1
; NumVGPRsForWavesPerEU: 1
; NamedBarCnt: 0
; Occupancy: 16
; WaveLimiterHint : 0
; COMPUTE_PGM_RSRC2:SCRATCH_EN: 0
; COMPUTE_PGM_RSRC2:USER_SGPR: 2
; COMPUTE_PGM_RSRC2:TRAP_HANDLER: 0
; COMPUTE_PGM_RSRC2:TGID_X_EN: 1
; COMPUTE_PGM_RSRC2:TGID_Y_EN: 0
; COMPUTE_PGM_RSRC2:TGID_Z_EN: 0
; COMPUTE_PGM_RSRC2:TIDIG_COMP_CNT: 0
	.section	.text._ZN9rocsolver6v33100L16mfma_gemm_kernelIdidPdPKS2_S4_EEv18rocblas_operation_S5_T0_S6_S6_T1_T2_lS6_S6_lT3_lS6_S6_lS7_T4_lS6_S6_l,"axG",@progbits,_ZN9rocsolver6v33100L16mfma_gemm_kernelIdidPdPKS2_S4_EEv18rocblas_operation_S5_T0_S6_S6_T1_T2_lS6_S6_lT3_lS6_S6_lS7_T4_lS6_S6_l,comdat
	.globl	_ZN9rocsolver6v33100L16mfma_gemm_kernelIdidPdPKS2_S4_EEv18rocblas_operation_S5_T0_S6_S6_T1_T2_lS6_S6_lT3_lS6_S6_lS7_T4_lS6_S6_l ; -- Begin function _ZN9rocsolver6v33100L16mfma_gemm_kernelIdidPdPKS2_S4_EEv18rocblas_operation_S5_T0_S6_S6_T1_T2_lS6_S6_lT3_lS6_S6_lS7_T4_lS6_S6_l
	.p2align	8
	.type	_ZN9rocsolver6v33100L16mfma_gemm_kernelIdidPdPKS2_S4_EEv18rocblas_operation_S5_T0_S6_S6_T1_T2_lS6_S6_lT3_lS6_S6_lS7_T4_lS6_S6_l,@function
_ZN9rocsolver6v33100L16mfma_gemm_kernelIdidPdPKS2_S4_EEv18rocblas_operation_S5_T0_S6_S6_T1_T2_lS6_S6_lT3_lS6_S6_lS7_T4_lS6_S6_l: ; @_ZN9rocsolver6v33100L16mfma_gemm_kernelIdidPdPKS2_S4_EEv18rocblas_operation_S5_T0_S6_S6_T1_T2_lS6_S6_lT3_lS6_S6_lS7_T4_lS6_S6_l
; %bb.0:
	s_endpgm
	.section	.rodata,"a",@progbits
	.p2align	6, 0x0
	.amdhsa_kernel _ZN9rocsolver6v33100L16mfma_gemm_kernelIdidPdPKS2_S4_EEv18rocblas_operation_S5_T0_S6_S6_T1_T2_lS6_S6_lT3_lS6_S6_lS7_T4_lS6_S6_l
		.amdhsa_group_segment_fixed_size 0
		.amdhsa_private_segment_fixed_size 0
		.amdhsa_kernarg_size 136
		.amdhsa_user_sgpr_count 2
		.amdhsa_user_sgpr_dispatch_ptr 0
		.amdhsa_user_sgpr_queue_ptr 0
		.amdhsa_user_sgpr_kernarg_segment_ptr 1
		.amdhsa_user_sgpr_dispatch_id 0
		.amdhsa_user_sgpr_kernarg_preload_length 0
		.amdhsa_user_sgpr_kernarg_preload_offset 0
		.amdhsa_user_sgpr_private_segment_size 0
		.amdhsa_wavefront_size32 1
		.amdhsa_uses_dynamic_stack 0
		.amdhsa_enable_private_segment 0
		.amdhsa_system_sgpr_workgroup_id_x 1
		.amdhsa_system_sgpr_workgroup_id_y 0
		.amdhsa_system_sgpr_workgroup_id_z 0
		.amdhsa_system_sgpr_workgroup_info 0
		.amdhsa_system_vgpr_workitem_id 0
		.amdhsa_next_free_vgpr 1
		.amdhsa_next_free_sgpr 1
		.amdhsa_named_barrier_count 0
		.amdhsa_reserve_vcc 0
		.amdhsa_float_round_mode_32 0
		.amdhsa_float_round_mode_16_64 0
		.amdhsa_float_denorm_mode_32 3
		.amdhsa_float_denorm_mode_16_64 3
		.amdhsa_fp16_overflow 0
		.amdhsa_memory_ordered 1
		.amdhsa_forward_progress 1
		.amdhsa_inst_pref_size 1
		.amdhsa_round_robin_scheduling 0
		.amdhsa_exception_fp_ieee_invalid_op 0
		.amdhsa_exception_fp_denorm_src 0
		.amdhsa_exception_fp_ieee_div_zero 0
		.amdhsa_exception_fp_ieee_overflow 0
		.amdhsa_exception_fp_ieee_underflow 0
		.amdhsa_exception_fp_ieee_inexact 0
		.amdhsa_exception_int_div_zero 0
	.end_amdhsa_kernel
	.section	.text._ZN9rocsolver6v33100L16mfma_gemm_kernelIdidPdPKS2_S4_EEv18rocblas_operation_S5_T0_S6_S6_T1_T2_lS6_S6_lT3_lS6_S6_lS7_T4_lS6_S6_l,"axG",@progbits,_ZN9rocsolver6v33100L16mfma_gemm_kernelIdidPdPKS2_S4_EEv18rocblas_operation_S5_T0_S6_S6_T1_T2_lS6_S6_lT3_lS6_S6_lS7_T4_lS6_S6_l,comdat
.Lfunc_end10:
	.size	_ZN9rocsolver6v33100L16mfma_gemm_kernelIdidPdPKS2_S4_EEv18rocblas_operation_S5_T0_S6_S6_T1_T2_lS6_S6_lT3_lS6_S6_lS7_T4_lS6_S6_l, .Lfunc_end10-_ZN9rocsolver6v33100L16mfma_gemm_kernelIdidPdPKS2_S4_EEv18rocblas_operation_S5_T0_S6_S6_T1_T2_lS6_S6_lT3_lS6_S6_lS7_T4_lS6_S6_l
                                        ; -- End function
	.set _ZN9rocsolver6v33100L16mfma_gemm_kernelIdidPdPKS2_S4_EEv18rocblas_operation_S5_T0_S6_S6_T1_T2_lS6_S6_lT3_lS6_S6_lS7_T4_lS6_S6_l.num_vgpr, 0
	.set _ZN9rocsolver6v33100L16mfma_gemm_kernelIdidPdPKS2_S4_EEv18rocblas_operation_S5_T0_S6_S6_T1_T2_lS6_S6_lT3_lS6_S6_lS7_T4_lS6_S6_l.num_agpr, 0
	.set _ZN9rocsolver6v33100L16mfma_gemm_kernelIdidPdPKS2_S4_EEv18rocblas_operation_S5_T0_S6_S6_T1_T2_lS6_S6_lT3_lS6_S6_lS7_T4_lS6_S6_l.numbered_sgpr, 0
	.set _ZN9rocsolver6v33100L16mfma_gemm_kernelIdidPdPKS2_S4_EEv18rocblas_operation_S5_T0_S6_S6_T1_T2_lS6_S6_lT3_lS6_S6_lS7_T4_lS6_S6_l.num_named_barrier, 0
	.set _ZN9rocsolver6v33100L16mfma_gemm_kernelIdidPdPKS2_S4_EEv18rocblas_operation_S5_T0_S6_S6_T1_T2_lS6_S6_lT3_lS6_S6_lS7_T4_lS6_S6_l.private_seg_size, 0
	.set _ZN9rocsolver6v33100L16mfma_gemm_kernelIdidPdPKS2_S4_EEv18rocblas_operation_S5_T0_S6_S6_T1_T2_lS6_S6_lT3_lS6_S6_lS7_T4_lS6_S6_l.uses_vcc, 0
	.set _ZN9rocsolver6v33100L16mfma_gemm_kernelIdidPdPKS2_S4_EEv18rocblas_operation_S5_T0_S6_S6_T1_T2_lS6_S6_lT3_lS6_S6_lS7_T4_lS6_S6_l.uses_flat_scratch, 0
	.set _ZN9rocsolver6v33100L16mfma_gemm_kernelIdidPdPKS2_S4_EEv18rocblas_operation_S5_T0_S6_S6_T1_T2_lS6_S6_lT3_lS6_S6_lS7_T4_lS6_S6_l.has_dyn_sized_stack, 0
	.set _ZN9rocsolver6v33100L16mfma_gemm_kernelIdidPdPKS2_S4_EEv18rocblas_operation_S5_T0_S6_S6_T1_T2_lS6_S6_lT3_lS6_S6_lS7_T4_lS6_S6_l.has_recursion, 0
	.set _ZN9rocsolver6v33100L16mfma_gemm_kernelIdidPdPKS2_S4_EEv18rocblas_operation_S5_T0_S6_S6_T1_T2_lS6_S6_lT3_lS6_S6_lS7_T4_lS6_S6_l.has_indirect_call, 0
	.section	.AMDGPU.csdata,"",@progbits
; Kernel info:
; codeLenInByte = 4
; TotalNumSgprs: 0
; NumVgprs: 0
; ScratchSize: 0
; MemoryBound: 0
; FloatMode: 240
; IeeeMode: 1
; LDSByteSize: 0 bytes/workgroup (compile time only)
; SGPRBlocks: 0
; VGPRBlocks: 0
; NumSGPRsForWavesPerEU: 1
; NumVGPRsForWavesPerEU: 1
; NamedBarCnt: 0
; Occupancy: 16
; WaveLimiterHint : 0
; COMPUTE_PGM_RSRC2:SCRATCH_EN: 0
; COMPUTE_PGM_RSRC2:USER_SGPR: 2
; COMPUTE_PGM_RSRC2:TRAP_HANDLER: 0
; COMPUTE_PGM_RSRC2:TGID_X_EN: 1
; COMPUTE_PGM_RSRC2:TGID_Y_EN: 0
; COMPUTE_PGM_RSRC2:TGID_Z_EN: 0
; COMPUTE_PGM_RSRC2:TIDIG_COMP_CNT: 0
	.section	.text._ZN9rocsolver6v33100L11gemm_kernelIdiPKdPdPKS4_S6_EEvT0_S7_S7_T1_bT2_lS7_S7_lbT3_lS7_S7_lS8_T4_lS7_S7_l,"axG",@progbits,_ZN9rocsolver6v33100L11gemm_kernelIdiPKdPdPKS4_S6_EEvT0_S7_S7_T1_bT2_lS7_S7_lbT3_lS7_S7_lS8_T4_lS7_S7_l,comdat
	.globl	_ZN9rocsolver6v33100L11gemm_kernelIdiPKdPdPKS4_S6_EEvT0_S7_S7_T1_bT2_lS7_S7_lbT3_lS7_S7_lS8_T4_lS7_S7_l ; -- Begin function _ZN9rocsolver6v33100L11gemm_kernelIdiPKdPdPKS4_S6_EEvT0_S7_S7_T1_bT2_lS7_S7_lbT3_lS7_S7_lS8_T4_lS7_S7_l
	.p2align	8
	.type	_ZN9rocsolver6v33100L11gemm_kernelIdiPKdPdPKS4_S6_EEvT0_S7_S7_T1_bT2_lS7_S7_lbT3_lS7_S7_lS8_T4_lS7_S7_l,@function
_ZN9rocsolver6v33100L11gemm_kernelIdiPKdPdPKS4_S6_EEvT0_S7_S7_T1_bT2_lS7_S7_lbT3_lS7_S7_lS8_T4_lS7_S7_l: ; @_ZN9rocsolver6v33100L11gemm_kernelIdiPKdPdPKS4_S6_EEvT0_S7_S7_T1_bT2_lS7_S7_lbT3_lS7_S7_lS8_T4_lS7_S7_l
; %bb.0:
	s_clause 0x1
	s_load_b32 s2, s[0:1], 0x9c
	s_load_b96 s[16:18], s[0:1], 0x0
	s_bfe_u32 s5, ttmp6, 0x4000c
	s_bfe_u32 s7, ttmp6, 0x40010
	s_and_b32 s6, ttmp7, 0xffff
	s_add_co_i32 s5, s5, 1
	s_add_co_i32 s7, s7, 1
	s_and_b32 s3, ttmp6, 15
	s_bfe_u32 s8, ttmp6, 0x40004
	s_mul_i32 s5, ttmp9, s5
	s_mul_i32 s7, s6, s7
	s_getreg_b32 s4, hwreg(HW_REG_IB_STS2, 6, 4)
	v_bfe_u32 v1, v0, 10, 10
	v_and_b32_e32 v0, 0x3ff, v0
	s_add_co_i32 s3, s3, s5
	s_add_co_i32 s8, s8, s7
	s_wait_kmcnt 0x0
	s_and_b32 s5, s2, 0xffff
	s_lshr_b32 s2, s2, 16
	s_cmp_eq_u32 s4, 0
	s_cselect_b32 s3, ttmp9, s3
	s_cselect_b32 s6, s6, s8
	v_mad_u32 v6, s3, s5, v0
	v_mad_u32 v7, s6, s2, v1
	s_delay_alu instid0(VALU_DEP_2) | instskip(NEXT) | instid1(VALU_DEP_2)
	v_cmp_gt_i32_e32 vcc_lo, s16, v6
	v_cmp_gt_i32_e64 s2, s17, v7
	s_mov_b32 s17, 0
	s_and_b32 s2, vcc_lo, s2
	s_delay_alu instid0(SALU_CYCLE_1)
	s_and_saveexec_b32 s3, s2
	s_cbranch_execz .LBB11_6
; %bb.1:
	s_clause 0x2
	s_load_b64 s[2:3], s[0:1], 0x78
	s_load_b64 s[20:21], s[0:1], 0x10
	s_load_b128 s[12:15], s[0:1], 0x68
	s_bfe_u32 s5, ttmp6, 0x40014
	s_lshr_b32 s6, ttmp7, 16
	s_add_co_i32 s5, s5, 1
	s_bfe_u32 s7, ttmp6, 0x40008
	s_mul_i32 s5, s6, s5
	s_delay_alu instid0(SALU_CYCLE_1)
	s_add_co_i32 s7, s7, s5
	s_cmp_eq_u32 s4, 0
	s_cselect_b32 s16, s6, s7
	s_cmp_lt_i32 s18, 1
	s_cbranch_scc1 .LBB11_4
; %bb.2:
	s_clause 0x2
	s_load_b128 s[24:27], s[0:1], 0x48
	s_load_b256 s[4:11], s[0:1], 0x20
	s_load_b64 s[22:23], s[0:1], 0x58
	v_mov_b64_e32 v[0:1], 0
	s_wait_kmcnt 0x0
	s_load_b64 s[24:25], s[24:25], s16 offset:0x0 scale_offset
	v_mul_lo_u32 v2, v6, s8
	v_mul_lo_u32 v4, v7, s23
	s_mul_u64 s[10:11], s[10:11], s[16:17]
	s_lshl_b64 s[6:7], s[6:7], 3
	s_lshl_b64 s[10:11], s[10:11], 3
	s_lshl_b64 s[26:27], s[26:27], 3
	s_add_nc_u64 s[6:7], s[10:11], s[6:7]
	s_ashr_i32 s23, s22, 31
	s_add_nc_u64 s[4:5], s[4:5], s[6:7]
	s_delay_alu instid0(VALU_DEP_1) | instskip(NEXT) | instid1(VALU_DEP_1)
	v_dual_ashrrev_i32 v3, 31, v2 :: v_dual_ashrrev_i32 v5, 31, v4
	v_lshl_add_u64 v[2:3], v[2:3], 3, s[4:5]
	s_lshl_b64 s[4:5], s[22:23], 3
	s_wait_kmcnt 0x0
	s_add_nc_u64 s[6:7], s[24:25], s[26:27]
	s_delay_alu instid0(SALU_CYCLE_1) | instskip(SKIP_2) | instid1(SALU_CYCLE_1)
	v_lshl_add_u64 v[4:5], v[4:5], 3, s[6:7]
	s_ashr_i32 s7, s9, 31
	s_mov_b32 s6, s9
	s_lshl_b64 s[6:7], s[6:7], 3
.LBB11_3:                               ; =>This Inner Loop Header: Depth=1
	global_load_b64 v[8:9], v[2:3], off
	flat_load_b64 v[10:11], v[4:5]
	s_wait_xcnt 0x0
	v_add_nc_u64_e32 v[4:5], s[4:5], v[4:5]
	v_add_nc_u64_e32 v[2:3], s[6:7], v[2:3]
	s_add_co_i32 s18, s18, -1
	s_delay_alu instid0(SALU_CYCLE_1)
	s_cmp_eq_u32 s18, 0
	s_wait_loadcnt_dscnt 0x0
	v_fmac_f64_e32 v[0:1], v[8:9], v[10:11]
	s_cbranch_scc0 .LBB11_3
	s_branch .LBB11_5
.LBB11_4:
	v_mov_b64_e32 v[0:1], 0
.LBB11_5:
	s_wait_kmcnt 0x0
	s_load_b64 s[4:5], s[20:21], 0x0
	s_load_b64 s[6:7], s[12:13], 0x0
	s_load_b64 s[8:9], s[14:15], s16 offset:0x0 scale_offset
                                        ; kill: killed $sgpr12_sgpr13_sgpr14 killed $sgpr15
                                        ; kill: killed $sgpr16
                                        ; kill: killed $sgpr20_sgpr21
	s_nop 0
	s_load_b64 s[0:1], s[0:1], 0x80
	s_wait_kmcnt 0x0
	v_mul_lo_u32 v2, v6, s0
	s_delay_alu instid0(VALU_DEP_1) | instskip(SKIP_1) | instid1(SALU_CYCLE_1)
	v_mad_u32 v4, v7, s1, v2
	s_lshl_b64 s[0:1], s[2:3], 3
	s_add_nc_u64 s[0:1], s[8:9], s[0:1]
	flat_load_b64 v[2:3], v4, s[0:1] scale_offset
	s_wait_loadcnt_dscnt 0x0
	v_mul_f64_e32 v[2:3], s[6:7], v[2:3]
	s_delay_alu instid0(VALU_DEP_1)
	v_fmac_f64_e32 v[2:3], s[4:5], v[0:1]
	flat_store_b64 v4, v[2:3], s[0:1] scale_offset
.LBB11_6:
	s_endpgm
	.section	.rodata,"a",@progbits
	.p2align	6, 0x0
	.amdhsa_kernel _ZN9rocsolver6v33100L11gemm_kernelIdiPKdPdPKS4_S6_EEvT0_S7_S7_T1_bT2_lS7_S7_lbT3_lS7_S7_lS8_T4_lS7_S7_l
		.amdhsa_group_segment_fixed_size 0
		.amdhsa_private_segment_fixed_size 0
		.amdhsa_kernarg_size 400
		.amdhsa_user_sgpr_count 2
		.amdhsa_user_sgpr_dispatch_ptr 0
		.amdhsa_user_sgpr_queue_ptr 0
		.amdhsa_user_sgpr_kernarg_segment_ptr 1
		.amdhsa_user_sgpr_dispatch_id 0
		.amdhsa_user_sgpr_kernarg_preload_length 0
		.amdhsa_user_sgpr_kernarg_preload_offset 0
		.amdhsa_user_sgpr_private_segment_size 0
		.amdhsa_wavefront_size32 1
		.amdhsa_uses_dynamic_stack 0
		.amdhsa_enable_private_segment 0
		.amdhsa_system_sgpr_workgroup_id_x 1
		.amdhsa_system_sgpr_workgroup_id_y 1
		.amdhsa_system_sgpr_workgroup_id_z 1
		.amdhsa_system_sgpr_workgroup_info 0
		.amdhsa_system_vgpr_workitem_id 1
		.amdhsa_next_free_vgpr 12
		.amdhsa_next_free_sgpr 28
		.amdhsa_named_barrier_count 0
		.amdhsa_reserve_vcc 1
		.amdhsa_float_round_mode_32 0
		.amdhsa_float_round_mode_16_64 0
		.amdhsa_float_denorm_mode_32 3
		.amdhsa_float_denorm_mode_16_64 3
		.amdhsa_fp16_overflow 0
		.amdhsa_memory_ordered 1
		.amdhsa_forward_progress 1
		.amdhsa_inst_pref_size 5
		.amdhsa_round_robin_scheduling 0
		.amdhsa_exception_fp_ieee_invalid_op 0
		.amdhsa_exception_fp_denorm_src 0
		.amdhsa_exception_fp_ieee_div_zero 0
		.amdhsa_exception_fp_ieee_overflow 0
		.amdhsa_exception_fp_ieee_underflow 0
		.amdhsa_exception_fp_ieee_inexact 0
		.amdhsa_exception_int_div_zero 0
	.end_amdhsa_kernel
	.section	.text._ZN9rocsolver6v33100L11gemm_kernelIdiPKdPdPKS4_S6_EEvT0_S7_S7_T1_bT2_lS7_S7_lbT3_lS7_S7_lS8_T4_lS7_S7_l,"axG",@progbits,_ZN9rocsolver6v33100L11gemm_kernelIdiPKdPdPKS4_S6_EEvT0_S7_S7_T1_bT2_lS7_S7_lbT3_lS7_S7_lS8_T4_lS7_S7_l,comdat
.Lfunc_end11:
	.size	_ZN9rocsolver6v33100L11gemm_kernelIdiPKdPdPKS4_S6_EEvT0_S7_S7_T1_bT2_lS7_S7_lbT3_lS7_S7_lS8_T4_lS7_S7_l, .Lfunc_end11-_ZN9rocsolver6v33100L11gemm_kernelIdiPKdPdPKS4_S6_EEvT0_S7_S7_T1_bT2_lS7_S7_lbT3_lS7_S7_lS8_T4_lS7_S7_l
                                        ; -- End function
	.set _ZN9rocsolver6v33100L11gemm_kernelIdiPKdPdPKS4_S6_EEvT0_S7_S7_T1_bT2_lS7_S7_lbT3_lS7_S7_lS8_T4_lS7_S7_l.num_vgpr, 12
	.set _ZN9rocsolver6v33100L11gemm_kernelIdiPKdPdPKS4_S6_EEvT0_S7_S7_T1_bT2_lS7_S7_lbT3_lS7_S7_lS8_T4_lS7_S7_l.num_agpr, 0
	.set _ZN9rocsolver6v33100L11gemm_kernelIdiPKdPdPKS4_S6_EEvT0_S7_S7_T1_bT2_lS7_S7_lbT3_lS7_S7_lS8_T4_lS7_S7_l.numbered_sgpr, 28
	.set _ZN9rocsolver6v33100L11gemm_kernelIdiPKdPdPKS4_S6_EEvT0_S7_S7_T1_bT2_lS7_S7_lbT3_lS7_S7_lS8_T4_lS7_S7_l.num_named_barrier, 0
	.set _ZN9rocsolver6v33100L11gemm_kernelIdiPKdPdPKS4_S6_EEvT0_S7_S7_T1_bT2_lS7_S7_lbT3_lS7_S7_lS8_T4_lS7_S7_l.private_seg_size, 0
	.set _ZN9rocsolver6v33100L11gemm_kernelIdiPKdPdPKS4_S6_EEvT0_S7_S7_T1_bT2_lS7_S7_lbT3_lS7_S7_lS8_T4_lS7_S7_l.uses_vcc, 1
	.set _ZN9rocsolver6v33100L11gemm_kernelIdiPKdPdPKS4_S6_EEvT0_S7_S7_T1_bT2_lS7_S7_lbT3_lS7_S7_lS8_T4_lS7_S7_l.uses_flat_scratch, 0
	.set _ZN9rocsolver6v33100L11gemm_kernelIdiPKdPdPKS4_S6_EEvT0_S7_S7_T1_bT2_lS7_S7_lbT3_lS7_S7_lS8_T4_lS7_S7_l.has_dyn_sized_stack, 0
	.set _ZN9rocsolver6v33100L11gemm_kernelIdiPKdPdPKS4_S6_EEvT0_S7_S7_T1_bT2_lS7_S7_lbT3_lS7_S7_lS8_T4_lS7_S7_l.has_recursion, 0
	.set _ZN9rocsolver6v33100L11gemm_kernelIdiPKdPdPKS4_S6_EEvT0_S7_S7_T1_bT2_lS7_S7_lbT3_lS7_S7_lS8_T4_lS7_S7_l.has_indirect_call, 0
	.section	.AMDGPU.csdata,"",@progbits
; Kernel info:
; codeLenInByte = 592
; TotalNumSgprs: 30
; NumVgprs: 12
; ScratchSize: 0
; MemoryBound: 0
; FloatMode: 240
; IeeeMode: 1
; LDSByteSize: 0 bytes/workgroup (compile time only)
; SGPRBlocks: 0
; VGPRBlocks: 0
; NumSGPRsForWavesPerEU: 30
; NumVGPRsForWavesPerEU: 12
; NamedBarCnt: 0
; Occupancy: 16
; WaveLimiterHint : 1
; COMPUTE_PGM_RSRC2:SCRATCH_EN: 0
; COMPUTE_PGM_RSRC2:USER_SGPR: 2
; COMPUTE_PGM_RSRC2:TRAP_HANDLER: 0
; COMPUTE_PGM_RSRC2:TGID_X_EN: 1
; COMPUTE_PGM_RSRC2:TGID_Y_EN: 1
; COMPUTE_PGM_RSRC2:TGID_Z_EN: 1
; COMPUTE_PGM_RSRC2:TIDIG_COMP_CNT: 1
	.section	.text._ZN9rocsolver6v33100L11gemm_kernelIdidPdPKS2_S4_EEvT0_S5_S5_T1_bT2_lS5_S5_lbT3_lS5_S5_lS6_T4_lS5_S5_l,"axG",@progbits,_ZN9rocsolver6v33100L11gemm_kernelIdidPdPKS2_S4_EEvT0_S5_S5_T1_bT2_lS5_S5_lbT3_lS5_S5_lS6_T4_lS5_S5_l,comdat
	.globl	_ZN9rocsolver6v33100L11gemm_kernelIdidPdPKS2_S4_EEvT0_S5_S5_T1_bT2_lS5_S5_lbT3_lS5_S5_lS6_T4_lS5_S5_l ; -- Begin function _ZN9rocsolver6v33100L11gemm_kernelIdidPdPKS2_S4_EEvT0_S5_S5_T1_bT2_lS5_S5_lbT3_lS5_S5_lS6_T4_lS5_S5_l
	.p2align	8
	.type	_ZN9rocsolver6v33100L11gemm_kernelIdidPdPKS2_S4_EEvT0_S5_S5_T1_bT2_lS5_S5_lbT3_lS5_S5_lS6_T4_lS5_S5_l,@function
_ZN9rocsolver6v33100L11gemm_kernelIdidPdPKS2_S4_EEvT0_S5_S5_T1_bT2_lS5_S5_lbT3_lS5_S5_lS6_T4_lS5_S5_l: ; @_ZN9rocsolver6v33100L11gemm_kernelIdidPdPKS2_S4_EEvT0_S5_S5_T1_bT2_lS5_S5_lbT3_lS5_S5_lS6_T4_lS5_S5_l
; %bb.0:
	s_clause 0x1
	s_load_b32 s2, s[0:1], 0x9c
	s_load_b96 s[16:18], s[0:1], 0x0
	s_bfe_u32 s5, ttmp6, 0x4000c
	s_bfe_u32 s7, ttmp6, 0x40010
	s_and_b32 s6, ttmp7, 0xffff
	s_add_co_i32 s5, s5, 1
	s_add_co_i32 s7, s7, 1
	s_and_b32 s3, ttmp6, 15
	s_bfe_u32 s8, ttmp6, 0x40004
	s_mul_i32 s5, ttmp9, s5
	s_mul_i32 s7, s6, s7
	s_getreg_b32 s4, hwreg(HW_REG_IB_STS2, 6, 4)
	v_bfe_u32 v1, v0, 10, 10
	v_and_b32_e32 v0, 0x3ff, v0
	s_add_co_i32 s3, s3, s5
	s_add_co_i32 s8, s8, s7
	s_wait_kmcnt 0x0
	s_and_b32 s5, s2, 0xffff
	s_lshr_b32 s2, s2, 16
	s_cmp_eq_u32 s4, 0
	s_cselect_b32 s3, ttmp9, s3
	s_cselect_b32 s6, s6, s8
	v_mad_u32 v6, s3, s5, v0
	v_mad_u32 v7, s6, s2, v1
	s_delay_alu instid0(VALU_DEP_2) | instskip(NEXT) | instid1(VALU_DEP_2)
	v_cmp_gt_i32_e32 vcc_lo, s16, v6
	v_cmp_gt_i32_e64 s2, s17, v7
	s_mov_b32 s17, 0
	s_and_b32 s2, vcc_lo, s2
	s_delay_alu instid0(SALU_CYCLE_1)
	s_and_saveexec_b32 s3, s2
	s_cbranch_execz .LBB12_6
; %bb.1:
	s_clause 0x1
	s_load_b128 s[12:15], s[0:1], 0x68
	s_load_b64 s[2:3], s[0:1], 0x78
	s_bfe_u32 s5, ttmp6, 0x40014
	s_lshr_b32 s6, ttmp7, 16
	s_add_co_i32 s5, s5, 1
	s_bfe_u32 s7, ttmp6, 0x40008
	s_mul_i32 s5, s6, s5
	s_delay_alu instid0(SALU_CYCLE_1)
	s_add_co_i32 s7, s7, s5
	s_cmp_eq_u32 s4, 0
	s_cselect_b32 s16, s6, s7
	s_cmp_lt_i32 s18, 1
	s_cbranch_scc1 .LBB12_4
; %bb.2:
	s_clause 0x2
	s_load_b128 s[20:23], s[0:1], 0x48
	s_load_b256 s[4:11], s[0:1], 0x20
	s_load_b64 s[24:25], s[0:1], 0x58
	v_mov_b64_e32 v[0:1], 0
	s_wait_kmcnt 0x0
	s_load_b64 s[20:21], s[20:21], s16 offset:0x0 scale_offset
	v_mul_lo_u32 v2, v6, s8
	v_mul_lo_u32 v4, v7, s25
	s_mul_u64 s[10:11], s[10:11], s[16:17]
	s_lshl_b64 s[6:7], s[6:7], 3
	s_lshl_b64 s[10:11], s[10:11], 3
	;; [unrolled: 1-line block ×3, first 2 shown]
	s_add_nc_u64 s[6:7], s[10:11], s[6:7]
	s_ashr_i32 s25, s24, 31
	s_add_nc_u64 s[4:5], s[4:5], s[6:7]
	s_delay_alu instid0(VALU_DEP_1) | instskip(NEXT) | instid1(VALU_DEP_1)
	v_dual_ashrrev_i32 v3, 31, v2 :: v_dual_ashrrev_i32 v5, 31, v4
	v_lshl_add_u64 v[2:3], v[2:3], 3, s[4:5]
	s_lshl_b64 s[4:5], s[24:25], 3
	s_wait_kmcnt 0x0
	s_add_nc_u64 s[6:7], s[20:21], s[22:23]
	s_delay_alu instid0(SALU_CYCLE_1) | instskip(SKIP_2) | instid1(SALU_CYCLE_1)
	v_lshl_add_u64 v[4:5], v[4:5], 3, s[6:7]
	s_ashr_i32 s7, s9, 31
	s_mov_b32 s6, s9
	s_lshl_b64 s[6:7], s[6:7], 3
.LBB12_3:                               ; =>This Inner Loop Header: Depth=1
	global_load_b64 v[8:9], v[2:3], off
	flat_load_b64 v[10:11], v[4:5]
	s_wait_xcnt 0x0
	v_add_nc_u64_e32 v[4:5], s[4:5], v[4:5]
	v_add_nc_u64_e32 v[2:3], s[6:7], v[2:3]
	s_add_co_i32 s18, s18, -1
	s_delay_alu instid0(SALU_CYCLE_1)
	s_cmp_eq_u32 s18, 0
	s_wait_loadcnt_dscnt 0x0
	v_fmac_f64_e32 v[0:1], v[8:9], v[10:11]
	s_cbranch_scc0 .LBB12_3
	s_branch .LBB12_5
.LBB12_4:
	v_mov_b64_e32 v[0:1], 0
.LBB12_5:
	s_wait_kmcnt 0x0
	s_load_b64 s[4:5], s[14:15], s16 offset:0x0 scale_offset
	s_load_b64 s[6:7], s[0:1], 0x80
	s_lshl_b64 s[2:3], s[2:3], 3
	s_wait_xcnt 0x0
	s_load_b64 s[0:1], s[0:1], 0x10
	s_wait_kmcnt 0x0
	s_add_nc_u64 s[2:3], s[4:5], s[2:3]
	v_mul_lo_u32 v2, v6, s6
	s_delay_alu instid0(VALU_DEP_1) | instskip(SKIP_3) | instid1(VALU_DEP_1)
	v_mad_u32 v4, v7, s7, v2
	flat_load_b64 v[2:3], v4, s[2:3] scale_offset
	s_wait_loadcnt_dscnt 0x0
	v_mul_f64_e32 v[2:3], s[12:13], v[2:3]
	v_fmac_f64_e32 v[2:3], s[0:1], v[0:1]
	flat_store_b64 v4, v[2:3], s[2:3] scale_offset
.LBB12_6:
	s_endpgm
	.section	.rodata,"a",@progbits
	.p2align	6, 0x0
	.amdhsa_kernel _ZN9rocsolver6v33100L11gemm_kernelIdidPdPKS2_S4_EEvT0_S5_S5_T1_bT2_lS5_S5_lbT3_lS5_S5_lS6_T4_lS5_S5_l
		.amdhsa_group_segment_fixed_size 0
		.amdhsa_private_segment_fixed_size 0
		.amdhsa_kernarg_size 400
		.amdhsa_user_sgpr_count 2
		.amdhsa_user_sgpr_dispatch_ptr 0
		.amdhsa_user_sgpr_queue_ptr 0
		.amdhsa_user_sgpr_kernarg_segment_ptr 1
		.amdhsa_user_sgpr_dispatch_id 0
		.amdhsa_user_sgpr_kernarg_preload_length 0
		.amdhsa_user_sgpr_kernarg_preload_offset 0
		.amdhsa_user_sgpr_private_segment_size 0
		.amdhsa_wavefront_size32 1
		.amdhsa_uses_dynamic_stack 0
		.amdhsa_enable_private_segment 0
		.amdhsa_system_sgpr_workgroup_id_x 1
		.amdhsa_system_sgpr_workgroup_id_y 1
		.amdhsa_system_sgpr_workgroup_id_z 1
		.amdhsa_system_sgpr_workgroup_info 0
		.amdhsa_system_vgpr_workitem_id 1
		.amdhsa_next_free_vgpr 12
		.amdhsa_next_free_sgpr 26
		.amdhsa_named_barrier_count 0
		.amdhsa_reserve_vcc 1
		.amdhsa_float_round_mode_32 0
		.amdhsa_float_round_mode_16_64 0
		.amdhsa_float_denorm_mode_32 3
		.amdhsa_float_denorm_mode_16_64 3
		.amdhsa_fp16_overflow 0
		.amdhsa_memory_ordered 1
		.amdhsa_forward_progress 1
		.amdhsa_inst_pref_size 5
		.amdhsa_round_robin_scheduling 0
		.amdhsa_exception_fp_ieee_invalid_op 0
		.amdhsa_exception_fp_denorm_src 0
		.amdhsa_exception_fp_ieee_div_zero 0
		.amdhsa_exception_fp_ieee_overflow 0
		.amdhsa_exception_fp_ieee_underflow 0
		.amdhsa_exception_fp_ieee_inexact 0
		.amdhsa_exception_int_div_zero 0
	.end_amdhsa_kernel
	.section	.text._ZN9rocsolver6v33100L11gemm_kernelIdidPdPKS2_S4_EEvT0_S5_S5_T1_bT2_lS5_S5_lbT3_lS5_S5_lS6_T4_lS5_S5_l,"axG",@progbits,_ZN9rocsolver6v33100L11gemm_kernelIdidPdPKS2_S4_EEvT0_S5_S5_T1_bT2_lS5_S5_lbT3_lS5_S5_lS6_T4_lS5_S5_l,comdat
.Lfunc_end12:
	.size	_ZN9rocsolver6v33100L11gemm_kernelIdidPdPKS2_S4_EEvT0_S5_S5_T1_bT2_lS5_S5_lbT3_lS5_S5_lS6_T4_lS5_S5_l, .Lfunc_end12-_ZN9rocsolver6v33100L11gemm_kernelIdidPdPKS2_S4_EEvT0_S5_S5_T1_bT2_lS5_S5_lbT3_lS5_S5_lS6_T4_lS5_S5_l
                                        ; -- End function
	.set _ZN9rocsolver6v33100L11gemm_kernelIdidPdPKS2_S4_EEvT0_S5_S5_T1_bT2_lS5_S5_lbT3_lS5_S5_lS6_T4_lS5_S5_l.num_vgpr, 12
	.set _ZN9rocsolver6v33100L11gemm_kernelIdidPdPKS2_S4_EEvT0_S5_S5_T1_bT2_lS5_S5_lbT3_lS5_S5_lS6_T4_lS5_S5_l.num_agpr, 0
	.set _ZN9rocsolver6v33100L11gemm_kernelIdidPdPKS2_S4_EEvT0_S5_S5_T1_bT2_lS5_S5_lbT3_lS5_S5_lS6_T4_lS5_S5_l.numbered_sgpr, 26
	.set _ZN9rocsolver6v33100L11gemm_kernelIdidPdPKS2_S4_EEvT0_S5_S5_T1_bT2_lS5_S5_lbT3_lS5_S5_lS6_T4_lS5_S5_l.num_named_barrier, 0
	.set _ZN9rocsolver6v33100L11gemm_kernelIdidPdPKS2_S4_EEvT0_S5_S5_T1_bT2_lS5_S5_lbT3_lS5_S5_lS6_T4_lS5_S5_l.private_seg_size, 0
	.set _ZN9rocsolver6v33100L11gemm_kernelIdidPdPKS2_S4_EEvT0_S5_S5_T1_bT2_lS5_S5_lbT3_lS5_S5_lS6_T4_lS5_S5_l.uses_vcc, 1
	.set _ZN9rocsolver6v33100L11gemm_kernelIdidPdPKS2_S4_EEvT0_S5_S5_T1_bT2_lS5_S5_lbT3_lS5_S5_lS6_T4_lS5_S5_l.uses_flat_scratch, 0
	.set _ZN9rocsolver6v33100L11gemm_kernelIdidPdPKS2_S4_EEvT0_S5_S5_T1_bT2_lS5_S5_lbT3_lS5_S5_lS6_T4_lS5_S5_l.has_dyn_sized_stack, 0
	.set _ZN9rocsolver6v33100L11gemm_kernelIdidPdPKS2_S4_EEvT0_S5_S5_T1_bT2_lS5_S5_lbT3_lS5_S5_lS6_T4_lS5_S5_l.has_recursion, 0
	.set _ZN9rocsolver6v33100L11gemm_kernelIdidPdPKS2_S4_EEvT0_S5_S5_T1_bT2_lS5_S5_lbT3_lS5_S5_lS6_T4_lS5_S5_l.has_indirect_call, 0
	.section	.AMDGPU.csdata,"",@progbits
; Kernel info:
; codeLenInByte = 572
; TotalNumSgprs: 28
; NumVgprs: 12
; ScratchSize: 0
; MemoryBound: 0
; FloatMode: 240
; IeeeMode: 1
; LDSByteSize: 0 bytes/workgroup (compile time only)
; SGPRBlocks: 0
; VGPRBlocks: 0
; NumSGPRsForWavesPerEU: 28
; NumVGPRsForWavesPerEU: 12
; NamedBarCnt: 0
; Occupancy: 16
; WaveLimiterHint : 1
; COMPUTE_PGM_RSRC2:SCRATCH_EN: 0
; COMPUTE_PGM_RSRC2:USER_SGPR: 2
; COMPUTE_PGM_RSRC2:TRAP_HANDLER: 0
; COMPUTE_PGM_RSRC2:TGID_X_EN: 1
; COMPUTE_PGM_RSRC2:TGID_Y_EN: 1
; COMPUTE_PGM_RSRC2:TGID_Z_EN: 1
; COMPUTE_PGM_RSRC2:TIDIG_COMP_CNT: 1
	.section	.text._ZN9rocsolver6v33100L16mfma_gemm_kernelIdiPKdPKPdS4_S6_EEv18rocblas_operation_S7_T0_S8_S8_T1_T2_lS8_S8_lT3_lS8_S8_lS9_T4_lS8_S8_l,"axG",@progbits,_ZN9rocsolver6v33100L16mfma_gemm_kernelIdiPKdPKPdS4_S6_EEv18rocblas_operation_S7_T0_S8_S8_T1_T2_lS8_S8_lT3_lS8_S8_lS9_T4_lS8_S8_l,comdat
	.globl	_ZN9rocsolver6v33100L16mfma_gemm_kernelIdiPKdPKPdS4_S6_EEv18rocblas_operation_S7_T0_S8_S8_T1_T2_lS8_S8_lT3_lS8_S8_lS9_T4_lS8_S8_l ; -- Begin function _ZN9rocsolver6v33100L16mfma_gemm_kernelIdiPKdPKPdS4_S6_EEv18rocblas_operation_S7_T0_S8_S8_T1_T2_lS8_S8_lT3_lS8_S8_lS9_T4_lS8_S8_l
	.p2align	8
	.type	_ZN9rocsolver6v33100L16mfma_gemm_kernelIdiPKdPKPdS4_S6_EEv18rocblas_operation_S7_T0_S8_S8_T1_T2_lS8_S8_lT3_lS8_S8_lS9_T4_lS8_S8_l,@function
_ZN9rocsolver6v33100L16mfma_gemm_kernelIdiPKdPKPdS4_S6_EEv18rocblas_operation_S7_T0_S8_S8_T1_T2_lS8_S8_lT3_lS8_S8_lS9_T4_lS8_S8_l: ; @_ZN9rocsolver6v33100L16mfma_gemm_kernelIdiPKdPKPdS4_S6_EEv18rocblas_operation_S7_T0_S8_S8_T1_T2_lS8_S8_lT3_lS8_S8_lS9_T4_lS8_S8_l
; %bb.0:
	s_endpgm
	.section	.rodata,"a",@progbits
	.p2align	6, 0x0
	.amdhsa_kernel _ZN9rocsolver6v33100L16mfma_gemm_kernelIdiPKdPKPdS4_S6_EEv18rocblas_operation_S7_T0_S8_S8_T1_T2_lS8_S8_lT3_lS8_S8_lS9_T4_lS8_S8_l
		.amdhsa_group_segment_fixed_size 0
		.amdhsa_private_segment_fixed_size 0
		.amdhsa_kernarg_size 136
		.amdhsa_user_sgpr_count 2
		.amdhsa_user_sgpr_dispatch_ptr 0
		.amdhsa_user_sgpr_queue_ptr 0
		.amdhsa_user_sgpr_kernarg_segment_ptr 1
		.amdhsa_user_sgpr_dispatch_id 0
		.amdhsa_user_sgpr_kernarg_preload_length 0
		.amdhsa_user_sgpr_kernarg_preload_offset 0
		.amdhsa_user_sgpr_private_segment_size 0
		.amdhsa_wavefront_size32 1
		.amdhsa_uses_dynamic_stack 0
		.amdhsa_enable_private_segment 0
		.amdhsa_system_sgpr_workgroup_id_x 1
		.amdhsa_system_sgpr_workgroup_id_y 0
		.amdhsa_system_sgpr_workgroup_id_z 0
		.amdhsa_system_sgpr_workgroup_info 0
		.amdhsa_system_vgpr_workitem_id 0
		.amdhsa_next_free_vgpr 1
		.amdhsa_next_free_sgpr 1
		.amdhsa_named_barrier_count 0
		.amdhsa_reserve_vcc 0
		.amdhsa_float_round_mode_32 0
		.amdhsa_float_round_mode_16_64 0
		.amdhsa_float_denorm_mode_32 3
		.amdhsa_float_denorm_mode_16_64 3
		.amdhsa_fp16_overflow 0
		.amdhsa_memory_ordered 1
		.amdhsa_forward_progress 1
		.amdhsa_inst_pref_size 1
		.amdhsa_round_robin_scheduling 0
		.amdhsa_exception_fp_ieee_invalid_op 0
		.amdhsa_exception_fp_denorm_src 0
		.amdhsa_exception_fp_ieee_div_zero 0
		.amdhsa_exception_fp_ieee_overflow 0
		.amdhsa_exception_fp_ieee_underflow 0
		.amdhsa_exception_fp_ieee_inexact 0
		.amdhsa_exception_int_div_zero 0
	.end_amdhsa_kernel
	.section	.text._ZN9rocsolver6v33100L16mfma_gemm_kernelIdiPKdPKPdS4_S6_EEv18rocblas_operation_S7_T0_S8_S8_T1_T2_lS8_S8_lT3_lS8_S8_lS9_T4_lS8_S8_l,"axG",@progbits,_ZN9rocsolver6v33100L16mfma_gemm_kernelIdiPKdPKPdS4_S6_EEv18rocblas_operation_S7_T0_S8_S8_T1_T2_lS8_S8_lT3_lS8_S8_lS9_T4_lS8_S8_l,comdat
.Lfunc_end13:
	.size	_ZN9rocsolver6v33100L16mfma_gemm_kernelIdiPKdPKPdS4_S6_EEv18rocblas_operation_S7_T0_S8_S8_T1_T2_lS8_S8_lT3_lS8_S8_lS9_T4_lS8_S8_l, .Lfunc_end13-_ZN9rocsolver6v33100L16mfma_gemm_kernelIdiPKdPKPdS4_S6_EEv18rocblas_operation_S7_T0_S8_S8_T1_T2_lS8_S8_lT3_lS8_S8_lS9_T4_lS8_S8_l
                                        ; -- End function
	.set _ZN9rocsolver6v33100L16mfma_gemm_kernelIdiPKdPKPdS4_S6_EEv18rocblas_operation_S7_T0_S8_S8_T1_T2_lS8_S8_lT3_lS8_S8_lS9_T4_lS8_S8_l.num_vgpr, 0
	.set _ZN9rocsolver6v33100L16mfma_gemm_kernelIdiPKdPKPdS4_S6_EEv18rocblas_operation_S7_T0_S8_S8_T1_T2_lS8_S8_lT3_lS8_S8_lS9_T4_lS8_S8_l.num_agpr, 0
	.set _ZN9rocsolver6v33100L16mfma_gemm_kernelIdiPKdPKPdS4_S6_EEv18rocblas_operation_S7_T0_S8_S8_T1_T2_lS8_S8_lT3_lS8_S8_lS9_T4_lS8_S8_l.numbered_sgpr, 0
	.set _ZN9rocsolver6v33100L16mfma_gemm_kernelIdiPKdPKPdS4_S6_EEv18rocblas_operation_S7_T0_S8_S8_T1_T2_lS8_S8_lT3_lS8_S8_lS9_T4_lS8_S8_l.num_named_barrier, 0
	.set _ZN9rocsolver6v33100L16mfma_gemm_kernelIdiPKdPKPdS4_S6_EEv18rocblas_operation_S7_T0_S8_S8_T1_T2_lS8_S8_lT3_lS8_S8_lS9_T4_lS8_S8_l.private_seg_size, 0
	.set _ZN9rocsolver6v33100L16mfma_gemm_kernelIdiPKdPKPdS4_S6_EEv18rocblas_operation_S7_T0_S8_S8_T1_T2_lS8_S8_lT3_lS8_S8_lS9_T4_lS8_S8_l.uses_vcc, 0
	.set _ZN9rocsolver6v33100L16mfma_gemm_kernelIdiPKdPKPdS4_S6_EEv18rocblas_operation_S7_T0_S8_S8_T1_T2_lS8_S8_lT3_lS8_S8_lS9_T4_lS8_S8_l.uses_flat_scratch, 0
	.set _ZN9rocsolver6v33100L16mfma_gemm_kernelIdiPKdPKPdS4_S6_EEv18rocblas_operation_S7_T0_S8_S8_T1_T2_lS8_S8_lT3_lS8_S8_lS9_T4_lS8_S8_l.has_dyn_sized_stack, 0
	.set _ZN9rocsolver6v33100L16mfma_gemm_kernelIdiPKdPKPdS4_S6_EEv18rocblas_operation_S7_T0_S8_S8_T1_T2_lS8_S8_lT3_lS8_S8_lS9_T4_lS8_S8_l.has_recursion, 0
	.set _ZN9rocsolver6v33100L16mfma_gemm_kernelIdiPKdPKPdS4_S6_EEv18rocblas_operation_S7_T0_S8_S8_T1_T2_lS8_S8_lT3_lS8_S8_lS9_T4_lS8_S8_l.has_indirect_call, 0
	.section	.AMDGPU.csdata,"",@progbits
; Kernel info:
; codeLenInByte = 4
; TotalNumSgprs: 0
; NumVgprs: 0
; ScratchSize: 0
; MemoryBound: 0
; FloatMode: 240
; IeeeMode: 1
; LDSByteSize: 0 bytes/workgroup (compile time only)
; SGPRBlocks: 0
; VGPRBlocks: 0
; NumSGPRsForWavesPerEU: 1
; NumVGPRsForWavesPerEU: 1
; NamedBarCnt: 0
; Occupancy: 16
; WaveLimiterHint : 0
; COMPUTE_PGM_RSRC2:SCRATCH_EN: 0
; COMPUTE_PGM_RSRC2:USER_SGPR: 2
; COMPUTE_PGM_RSRC2:TRAP_HANDLER: 0
; COMPUTE_PGM_RSRC2:TGID_X_EN: 1
; COMPUTE_PGM_RSRC2:TGID_Y_EN: 0
; COMPUTE_PGM_RSRC2:TGID_Z_EN: 0
; COMPUTE_PGM_RSRC2:TIDIG_COMP_CNT: 0
	.section	.text._ZN9rocsolver6v33100L16mfma_gemm_kernelIdidPKPdS2_S4_EEv18rocblas_operation_S5_T0_S6_S6_T1_T2_lS6_S6_lT3_lS6_S6_lS7_T4_lS6_S6_l,"axG",@progbits,_ZN9rocsolver6v33100L16mfma_gemm_kernelIdidPKPdS2_S4_EEv18rocblas_operation_S5_T0_S6_S6_T1_T2_lS6_S6_lT3_lS6_S6_lS7_T4_lS6_S6_l,comdat
	.globl	_ZN9rocsolver6v33100L16mfma_gemm_kernelIdidPKPdS2_S4_EEv18rocblas_operation_S5_T0_S6_S6_T1_T2_lS6_S6_lT3_lS6_S6_lS7_T4_lS6_S6_l ; -- Begin function _ZN9rocsolver6v33100L16mfma_gemm_kernelIdidPKPdS2_S4_EEv18rocblas_operation_S5_T0_S6_S6_T1_T2_lS6_S6_lT3_lS6_S6_lS7_T4_lS6_S6_l
	.p2align	8
	.type	_ZN9rocsolver6v33100L16mfma_gemm_kernelIdidPKPdS2_S4_EEv18rocblas_operation_S5_T0_S6_S6_T1_T2_lS6_S6_lT3_lS6_S6_lS7_T4_lS6_S6_l,@function
_ZN9rocsolver6v33100L16mfma_gemm_kernelIdidPKPdS2_S4_EEv18rocblas_operation_S5_T0_S6_S6_T1_T2_lS6_S6_lT3_lS6_S6_lS7_T4_lS6_S6_l: ; @_ZN9rocsolver6v33100L16mfma_gemm_kernelIdidPKPdS2_S4_EEv18rocblas_operation_S5_T0_S6_S6_T1_T2_lS6_S6_lT3_lS6_S6_lS7_T4_lS6_S6_l
; %bb.0:
	s_endpgm
	.section	.rodata,"a",@progbits
	.p2align	6, 0x0
	.amdhsa_kernel _ZN9rocsolver6v33100L16mfma_gemm_kernelIdidPKPdS2_S4_EEv18rocblas_operation_S5_T0_S6_S6_T1_T2_lS6_S6_lT3_lS6_S6_lS7_T4_lS6_S6_l
		.amdhsa_group_segment_fixed_size 0
		.amdhsa_private_segment_fixed_size 0
		.amdhsa_kernarg_size 136
		.amdhsa_user_sgpr_count 2
		.amdhsa_user_sgpr_dispatch_ptr 0
		.amdhsa_user_sgpr_queue_ptr 0
		.amdhsa_user_sgpr_kernarg_segment_ptr 1
		.amdhsa_user_sgpr_dispatch_id 0
		.amdhsa_user_sgpr_kernarg_preload_length 0
		.amdhsa_user_sgpr_kernarg_preload_offset 0
		.amdhsa_user_sgpr_private_segment_size 0
		.amdhsa_wavefront_size32 1
		.amdhsa_uses_dynamic_stack 0
		.amdhsa_enable_private_segment 0
		.amdhsa_system_sgpr_workgroup_id_x 1
		.amdhsa_system_sgpr_workgroup_id_y 0
		.amdhsa_system_sgpr_workgroup_id_z 0
		.amdhsa_system_sgpr_workgroup_info 0
		.amdhsa_system_vgpr_workitem_id 0
		.amdhsa_next_free_vgpr 1
		.amdhsa_next_free_sgpr 1
		.amdhsa_named_barrier_count 0
		.amdhsa_reserve_vcc 0
		.amdhsa_float_round_mode_32 0
		.amdhsa_float_round_mode_16_64 0
		.amdhsa_float_denorm_mode_32 3
		.amdhsa_float_denorm_mode_16_64 3
		.amdhsa_fp16_overflow 0
		.amdhsa_memory_ordered 1
		.amdhsa_forward_progress 1
		.amdhsa_inst_pref_size 1
		.amdhsa_round_robin_scheduling 0
		.amdhsa_exception_fp_ieee_invalid_op 0
		.amdhsa_exception_fp_denorm_src 0
		.amdhsa_exception_fp_ieee_div_zero 0
		.amdhsa_exception_fp_ieee_overflow 0
		.amdhsa_exception_fp_ieee_underflow 0
		.amdhsa_exception_fp_ieee_inexact 0
		.amdhsa_exception_int_div_zero 0
	.end_amdhsa_kernel
	.section	.text._ZN9rocsolver6v33100L16mfma_gemm_kernelIdidPKPdS2_S4_EEv18rocblas_operation_S5_T0_S6_S6_T1_T2_lS6_S6_lT3_lS6_S6_lS7_T4_lS6_S6_l,"axG",@progbits,_ZN9rocsolver6v33100L16mfma_gemm_kernelIdidPKPdS2_S4_EEv18rocblas_operation_S5_T0_S6_S6_T1_T2_lS6_S6_lT3_lS6_S6_lS7_T4_lS6_S6_l,comdat
.Lfunc_end14:
	.size	_ZN9rocsolver6v33100L16mfma_gemm_kernelIdidPKPdS2_S4_EEv18rocblas_operation_S5_T0_S6_S6_T1_T2_lS6_S6_lT3_lS6_S6_lS7_T4_lS6_S6_l, .Lfunc_end14-_ZN9rocsolver6v33100L16mfma_gemm_kernelIdidPKPdS2_S4_EEv18rocblas_operation_S5_T0_S6_S6_T1_T2_lS6_S6_lT3_lS6_S6_lS7_T4_lS6_S6_l
                                        ; -- End function
	.set _ZN9rocsolver6v33100L16mfma_gemm_kernelIdidPKPdS2_S4_EEv18rocblas_operation_S5_T0_S6_S6_T1_T2_lS6_S6_lT3_lS6_S6_lS7_T4_lS6_S6_l.num_vgpr, 0
	.set _ZN9rocsolver6v33100L16mfma_gemm_kernelIdidPKPdS2_S4_EEv18rocblas_operation_S5_T0_S6_S6_T1_T2_lS6_S6_lT3_lS6_S6_lS7_T4_lS6_S6_l.num_agpr, 0
	.set _ZN9rocsolver6v33100L16mfma_gemm_kernelIdidPKPdS2_S4_EEv18rocblas_operation_S5_T0_S6_S6_T1_T2_lS6_S6_lT3_lS6_S6_lS7_T4_lS6_S6_l.numbered_sgpr, 0
	.set _ZN9rocsolver6v33100L16mfma_gemm_kernelIdidPKPdS2_S4_EEv18rocblas_operation_S5_T0_S6_S6_T1_T2_lS6_S6_lT3_lS6_S6_lS7_T4_lS6_S6_l.num_named_barrier, 0
	.set _ZN9rocsolver6v33100L16mfma_gemm_kernelIdidPKPdS2_S4_EEv18rocblas_operation_S5_T0_S6_S6_T1_T2_lS6_S6_lT3_lS6_S6_lS7_T4_lS6_S6_l.private_seg_size, 0
	.set _ZN9rocsolver6v33100L16mfma_gemm_kernelIdidPKPdS2_S4_EEv18rocblas_operation_S5_T0_S6_S6_T1_T2_lS6_S6_lT3_lS6_S6_lS7_T4_lS6_S6_l.uses_vcc, 0
	.set _ZN9rocsolver6v33100L16mfma_gemm_kernelIdidPKPdS2_S4_EEv18rocblas_operation_S5_T0_S6_S6_T1_T2_lS6_S6_lT3_lS6_S6_lS7_T4_lS6_S6_l.uses_flat_scratch, 0
	.set _ZN9rocsolver6v33100L16mfma_gemm_kernelIdidPKPdS2_S4_EEv18rocblas_operation_S5_T0_S6_S6_T1_T2_lS6_S6_lT3_lS6_S6_lS7_T4_lS6_S6_l.has_dyn_sized_stack, 0
	.set _ZN9rocsolver6v33100L16mfma_gemm_kernelIdidPKPdS2_S4_EEv18rocblas_operation_S5_T0_S6_S6_T1_T2_lS6_S6_lT3_lS6_S6_lS7_T4_lS6_S6_l.has_recursion, 0
	.set _ZN9rocsolver6v33100L16mfma_gemm_kernelIdidPKPdS2_S4_EEv18rocblas_operation_S5_T0_S6_S6_T1_T2_lS6_S6_lT3_lS6_S6_lS7_T4_lS6_S6_l.has_indirect_call, 0
	.section	.AMDGPU.csdata,"",@progbits
; Kernel info:
; codeLenInByte = 4
; TotalNumSgprs: 0
; NumVgprs: 0
; ScratchSize: 0
; MemoryBound: 0
; FloatMode: 240
; IeeeMode: 1
; LDSByteSize: 0 bytes/workgroup (compile time only)
; SGPRBlocks: 0
; VGPRBlocks: 0
; NumSGPRsForWavesPerEU: 1
; NumVGPRsForWavesPerEU: 1
; NamedBarCnt: 0
; Occupancy: 16
; WaveLimiterHint : 0
; COMPUTE_PGM_RSRC2:SCRATCH_EN: 0
; COMPUTE_PGM_RSRC2:USER_SGPR: 2
; COMPUTE_PGM_RSRC2:TRAP_HANDLER: 0
; COMPUTE_PGM_RSRC2:TGID_X_EN: 1
; COMPUTE_PGM_RSRC2:TGID_Y_EN: 0
; COMPUTE_PGM_RSRC2:TGID_Z_EN: 0
; COMPUTE_PGM_RSRC2:TIDIG_COMP_CNT: 0
	.section	.text._ZN9rocsolver6v33100L11gemm_kernelIdiPKdPKPdS4_S6_EEvT0_S7_S7_T1_bT2_lS7_S7_lbT3_lS7_S7_lS8_T4_lS7_S7_l,"axG",@progbits,_ZN9rocsolver6v33100L11gemm_kernelIdiPKdPKPdS4_S6_EEvT0_S7_S7_T1_bT2_lS7_S7_lbT3_lS7_S7_lS8_T4_lS7_S7_l,comdat
	.globl	_ZN9rocsolver6v33100L11gemm_kernelIdiPKdPKPdS4_S6_EEvT0_S7_S7_T1_bT2_lS7_S7_lbT3_lS7_S7_lS8_T4_lS7_S7_l ; -- Begin function _ZN9rocsolver6v33100L11gemm_kernelIdiPKdPKPdS4_S6_EEvT0_S7_S7_T1_bT2_lS7_S7_lbT3_lS7_S7_lS8_T4_lS7_S7_l
	.p2align	8
	.type	_ZN9rocsolver6v33100L11gemm_kernelIdiPKdPKPdS4_S6_EEvT0_S7_S7_T1_bT2_lS7_S7_lbT3_lS7_S7_lS8_T4_lS7_S7_l,@function
_ZN9rocsolver6v33100L11gemm_kernelIdiPKdPKPdS4_S6_EEvT0_S7_S7_T1_bT2_lS7_S7_lbT3_lS7_S7_lS8_T4_lS7_S7_l: ; @_ZN9rocsolver6v33100L11gemm_kernelIdiPKdPKPdS4_S6_EEvT0_S7_S7_T1_bT2_lS7_S7_lbT3_lS7_S7_lS8_T4_lS7_S7_l
; %bb.0:
	s_clause 0x1
	s_load_b32 s2, s[0:1], 0x9c
	s_load_b96 s[16:18], s[0:1], 0x0
	s_bfe_u32 s4, ttmp6, 0x4000c
	s_bfe_u32 s6, ttmp6, 0x40010
	s_and_b32 s5, ttmp7, 0xffff
	s_add_co_i32 s4, s4, 1
	s_add_co_i32 s6, s6, 1
	s_and_b32 s3, ttmp6, 15
	s_bfe_u32 s7, ttmp6, 0x40004
	s_mul_i32 s4, ttmp9, s4
	s_mul_i32 s6, s5, s6
	s_getreg_b32 s12, hwreg(HW_REG_IB_STS2, 6, 4)
	v_bfe_u32 v1, v0, 10, 10
	v_and_b32_e32 v0, 0x3ff, v0
	s_add_co_i32 s3, s3, s4
	s_add_co_i32 s7, s7, s6
	s_wait_kmcnt 0x0
	s_and_b32 s4, s2, 0xffff
	s_lshr_b32 s2, s2, 16
	s_cmp_eq_u32 s12, 0
	s_cselect_b32 s3, ttmp9, s3
	s_cselect_b32 s5, s5, s7
	v_mad_u32 v6, s3, s4, v0
	v_mad_u32 v7, s5, s2, v1
	s_mov_b32 s3, 0
	s_delay_alu instid0(VALU_DEP_2) | instskip(NEXT) | instid1(VALU_DEP_2)
	v_cmp_gt_i32_e32 vcc_lo, s16, v6
	v_cmp_gt_i32_e64 s2, s17, v7
	s_and_b32 s2, vcc_lo, s2
	s_delay_alu instid0(SALU_CYCLE_1)
	s_and_saveexec_b32 s4, s2
	s_cbranch_execz .LBB15_6
; %bb.1:
	s_clause 0x1
	s_load_b64 s[16:17], s[0:1], 0x10
	s_load_b256 s[4:11], s[0:1], 0x60
	s_bfe_u32 s2, ttmp6, 0x40014
	s_lshr_b32 s13, ttmp7, 16
	s_add_co_i32 s2, s2, 1
	s_bfe_u32 s14, ttmp6, 0x40008
	s_mul_i32 s2, s13, s2
	s_delay_alu instid0(SALU_CYCLE_1)
	s_add_co_i32 s14, s14, s2
	s_cmp_eq_u32 s12, 0
	s_cselect_b32 s2, s13, s14
	s_cmp_lt_i32 s18, 1
	s_cbranch_scc1 .LBB15_4
; %bb.2:
	s_clause 0x3
	s_load_b128 s[12:15], s[0:1], 0x20
	s_load_b64 s[24:25], s[0:1], 0x58
	s_load_b64 s[26:27], s[0:1], 0x30
	s_load_b128 s[20:23], s[0:1], 0x48
	s_wait_kmcnt 0x0
	s_mul_u64 s[4:5], s[4:5], s[2:3]
	v_mov_b64_e32 v[0:1], 0
	s_lshl_b64 s[4:5], s[4:5], 3
	s_load_b64 s[12:13], s[12:13], s2 offset:0x0 scale_offset
	v_mul_lo_u32 v2, v7, s25
	v_mul_lo_u32 v4, v6, s26
	s_lshl_b64 s[22:23], s[22:23], 3
	s_lshl_b64 s[14:15], s[14:15], 3
	s_add_nc_u64 s[4:5], s[4:5], s[22:23]
	s_ashr_i32 s25, s24, 31
	s_add_nc_u64 s[4:5], s[20:21], s[4:5]
	s_delay_alu instid0(VALU_DEP_1) | instskip(NEXT) | instid1(VALU_DEP_1)
	v_dual_ashrrev_i32 v3, 31, v2 :: v_dual_ashrrev_i32 v5, 31, v4
	v_lshl_add_u64 v[2:3], v[2:3], 3, s[4:5]
	s_lshl_b64 s[4:5], s[24:25], 3
	s_wait_kmcnt 0x0
	s_add_nc_u64 s[12:13], s[12:13], s[14:15]
	s_delay_alu instid0(SALU_CYCLE_1) | instskip(SKIP_2) | instid1(SALU_CYCLE_1)
	v_lshl_add_u64 v[4:5], v[4:5], 3, s[12:13]
	s_ashr_i32 s13, s27, 31
	s_mov_b32 s12, s27
	s_lshl_b64 s[12:13], s[12:13], 3
.LBB15_3:                               ; =>This Inner Loop Header: Depth=1
	flat_load_b64 v[8:9], v[4:5]
	global_load_b64 v[10:11], v[2:3], off
	s_wait_xcnt 0x0
	v_add_nc_u64_e32 v[2:3], s[4:5], v[2:3]
	v_add_nc_u64_e32 v[4:5], s[12:13], v[4:5]
	s_add_co_i32 s18, s18, -1
	s_delay_alu instid0(SALU_CYCLE_1)
	s_cmp_eq_u32 s18, 0
	s_wait_loadcnt_dscnt 0x0
	v_fmac_f64_e32 v[0:1], v[8:9], v[10:11]
	s_cbranch_scc0 .LBB15_3
	s_branch .LBB15_5
.LBB15_4:
	v_mov_b64_e32 v[0:1], 0
.LBB15_5:
	s_wait_kmcnt 0x0
	s_load_b64 s[4:5], s[16:17], 0x0
	s_load_b64 s[12:13], s[6:7], 0x0
	s_load_b64 s[14:15], s[8:9], s2 offset:0x0 scale_offset
                                        ; kill: killed $sgpr2
                                        ; kill: killed $sgpr16_sgpr17
                                        ; kill: killed $sgpr6_sgpr7 killed $sgpr8_sgpr9
	s_nop 0
	s_load_b64 s[0:1], s[0:1], 0x80
	s_wait_kmcnt 0x0
	v_mul_lo_u32 v2, v6, s0
	s_delay_alu instid0(VALU_DEP_1) | instskip(SKIP_1) | instid1(SALU_CYCLE_1)
	v_mad_u32 v4, v7, s1, v2
	s_lshl_b64 s[0:1], s[10:11], 3
	s_add_nc_u64 s[0:1], s[14:15], s[0:1]
	flat_load_b64 v[2:3], v4, s[0:1] scale_offset
	s_wait_loadcnt_dscnt 0x0
	v_mul_f64_e32 v[2:3], s[12:13], v[2:3]
	s_delay_alu instid0(VALU_DEP_1)
	v_fmac_f64_e32 v[2:3], s[4:5], v[0:1]
	flat_store_b64 v4, v[2:3], s[0:1] scale_offset
.LBB15_6:
	s_endpgm
	.section	.rodata,"a",@progbits
	.p2align	6, 0x0
	.amdhsa_kernel _ZN9rocsolver6v33100L11gemm_kernelIdiPKdPKPdS4_S6_EEvT0_S7_S7_T1_bT2_lS7_S7_lbT3_lS7_S7_lS8_T4_lS7_S7_l
		.amdhsa_group_segment_fixed_size 0
		.amdhsa_private_segment_fixed_size 0
		.amdhsa_kernarg_size 400
		.amdhsa_user_sgpr_count 2
		.amdhsa_user_sgpr_dispatch_ptr 0
		.amdhsa_user_sgpr_queue_ptr 0
		.amdhsa_user_sgpr_kernarg_segment_ptr 1
		.amdhsa_user_sgpr_dispatch_id 0
		.amdhsa_user_sgpr_kernarg_preload_length 0
		.amdhsa_user_sgpr_kernarg_preload_offset 0
		.amdhsa_user_sgpr_private_segment_size 0
		.amdhsa_wavefront_size32 1
		.amdhsa_uses_dynamic_stack 0
		.amdhsa_enable_private_segment 0
		.amdhsa_system_sgpr_workgroup_id_x 1
		.amdhsa_system_sgpr_workgroup_id_y 1
		.amdhsa_system_sgpr_workgroup_id_z 1
		.amdhsa_system_sgpr_workgroup_info 0
		.amdhsa_system_vgpr_workitem_id 1
		.amdhsa_next_free_vgpr 12
		.amdhsa_next_free_sgpr 28
		.amdhsa_named_barrier_count 0
		.amdhsa_reserve_vcc 1
		.amdhsa_float_round_mode_32 0
		.amdhsa_float_round_mode_16_64 0
		.amdhsa_float_denorm_mode_32 3
		.amdhsa_float_denorm_mode_16_64 3
		.amdhsa_fp16_overflow 0
		.amdhsa_memory_ordered 1
		.amdhsa_forward_progress 1
		.amdhsa_inst_pref_size 5
		.amdhsa_round_robin_scheduling 0
		.amdhsa_exception_fp_ieee_invalid_op 0
		.amdhsa_exception_fp_denorm_src 0
		.amdhsa_exception_fp_ieee_div_zero 0
		.amdhsa_exception_fp_ieee_overflow 0
		.amdhsa_exception_fp_ieee_underflow 0
		.amdhsa_exception_fp_ieee_inexact 0
		.amdhsa_exception_int_div_zero 0
	.end_amdhsa_kernel
	.section	.text._ZN9rocsolver6v33100L11gemm_kernelIdiPKdPKPdS4_S6_EEvT0_S7_S7_T1_bT2_lS7_S7_lbT3_lS7_S7_lS8_T4_lS7_S7_l,"axG",@progbits,_ZN9rocsolver6v33100L11gemm_kernelIdiPKdPKPdS4_S6_EEvT0_S7_S7_T1_bT2_lS7_S7_lbT3_lS7_S7_lS8_T4_lS7_S7_l,comdat
.Lfunc_end15:
	.size	_ZN9rocsolver6v33100L11gemm_kernelIdiPKdPKPdS4_S6_EEvT0_S7_S7_T1_bT2_lS7_S7_lbT3_lS7_S7_lS8_T4_lS7_S7_l, .Lfunc_end15-_ZN9rocsolver6v33100L11gemm_kernelIdiPKdPKPdS4_S6_EEvT0_S7_S7_T1_bT2_lS7_S7_lbT3_lS7_S7_lS8_T4_lS7_S7_l
                                        ; -- End function
	.set _ZN9rocsolver6v33100L11gemm_kernelIdiPKdPKPdS4_S6_EEvT0_S7_S7_T1_bT2_lS7_S7_lbT3_lS7_S7_lS8_T4_lS7_S7_l.num_vgpr, 12
	.set _ZN9rocsolver6v33100L11gemm_kernelIdiPKdPKPdS4_S6_EEvT0_S7_S7_T1_bT2_lS7_S7_lbT3_lS7_S7_lS8_T4_lS7_S7_l.num_agpr, 0
	.set _ZN9rocsolver6v33100L11gemm_kernelIdiPKdPKPdS4_S6_EEvT0_S7_S7_T1_bT2_lS7_S7_lbT3_lS7_S7_lS8_T4_lS7_S7_l.numbered_sgpr, 28
	.set _ZN9rocsolver6v33100L11gemm_kernelIdiPKdPKPdS4_S6_EEvT0_S7_S7_T1_bT2_lS7_S7_lbT3_lS7_S7_lS8_T4_lS7_S7_l.num_named_barrier, 0
	.set _ZN9rocsolver6v33100L11gemm_kernelIdiPKdPKPdS4_S6_EEvT0_S7_S7_T1_bT2_lS7_S7_lbT3_lS7_S7_lS8_T4_lS7_S7_l.private_seg_size, 0
	.set _ZN9rocsolver6v33100L11gemm_kernelIdiPKdPKPdS4_S6_EEvT0_S7_S7_T1_bT2_lS7_S7_lbT3_lS7_S7_lS8_T4_lS7_S7_l.uses_vcc, 1
	.set _ZN9rocsolver6v33100L11gemm_kernelIdiPKdPKPdS4_S6_EEvT0_S7_S7_T1_bT2_lS7_S7_lbT3_lS7_S7_lS8_T4_lS7_S7_l.uses_flat_scratch, 0
	.set _ZN9rocsolver6v33100L11gemm_kernelIdiPKdPKPdS4_S6_EEvT0_S7_S7_T1_bT2_lS7_S7_lbT3_lS7_S7_lS8_T4_lS7_S7_l.has_dyn_sized_stack, 0
	.set _ZN9rocsolver6v33100L11gemm_kernelIdiPKdPKPdS4_S6_EEvT0_S7_S7_T1_bT2_lS7_S7_lbT3_lS7_S7_lS8_T4_lS7_S7_l.has_recursion, 0
	.set _ZN9rocsolver6v33100L11gemm_kernelIdiPKdPKPdS4_S6_EEvT0_S7_S7_T1_bT2_lS7_S7_lbT3_lS7_S7_lS8_T4_lS7_S7_l.has_indirect_call, 0
	.section	.AMDGPU.csdata,"",@progbits
; Kernel info:
; codeLenInByte = 592
; TotalNumSgprs: 30
; NumVgprs: 12
; ScratchSize: 0
; MemoryBound: 0
; FloatMode: 240
; IeeeMode: 1
; LDSByteSize: 0 bytes/workgroup (compile time only)
; SGPRBlocks: 0
; VGPRBlocks: 0
; NumSGPRsForWavesPerEU: 30
; NumVGPRsForWavesPerEU: 12
; NamedBarCnt: 0
; Occupancy: 16
; WaveLimiterHint : 1
; COMPUTE_PGM_RSRC2:SCRATCH_EN: 0
; COMPUTE_PGM_RSRC2:USER_SGPR: 2
; COMPUTE_PGM_RSRC2:TRAP_HANDLER: 0
; COMPUTE_PGM_RSRC2:TGID_X_EN: 1
; COMPUTE_PGM_RSRC2:TGID_Y_EN: 1
; COMPUTE_PGM_RSRC2:TGID_Z_EN: 1
; COMPUTE_PGM_RSRC2:TIDIG_COMP_CNT: 1
	.section	.text._ZN9rocsolver6v33100L11gemm_kernelIdidPKPdS2_S4_EEvT0_S5_S5_T1_bT2_lS5_S5_lbT3_lS5_S5_lS6_T4_lS5_S5_l,"axG",@progbits,_ZN9rocsolver6v33100L11gemm_kernelIdidPKPdS2_S4_EEvT0_S5_S5_T1_bT2_lS5_S5_lbT3_lS5_S5_lS6_T4_lS5_S5_l,comdat
	.globl	_ZN9rocsolver6v33100L11gemm_kernelIdidPKPdS2_S4_EEvT0_S5_S5_T1_bT2_lS5_S5_lbT3_lS5_S5_lS6_T4_lS5_S5_l ; -- Begin function _ZN9rocsolver6v33100L11gemm_kernelIdidPKPdS2_S4_EEvT0_S5_S5_T1_bT2_lS5_S5_lbT3_lS5_S5_lS6_T4_lS5_S5_l
	.p2align	8
	.type	_ZN9rocsolver6v33100L11gemm_kernelIdidPKPdS2_S4_EEvT0_S5_S5_T1_bT2_lS5_S5_lbT3_lS5_S5_lS6_T4_lS5_S5_l,@function
_ZN9rocsolver6v33100L11gemm_kernelIdidPKPdS2_S4_EEvT0_S5_S5_T1_bT2_lS5_S5_lbT3_lS5_S5_lS6_T4_lS5_S5_l: ; @_ZN9rocsolver6v33100L11gemm_kernelIdidPKPdS2_S4_EEvT0_S5_S5_T1_bT2_lS5_S5_lbT3_lS5_S5_lS6_T4_lS5_S5_l
; %bb.0:
	s_clause 0x1
	s_load_b32 s2, s[0:1], 0x9c
	s_load_b96 s[16:18], s[0:1], 0x0
	s_bfe_u32 s4, ttmp6, 0x4000c
	s_bfe_u32 s6, ttmp6, 0x40010
	s_and_b32 s5, ttmp7, 0xffff
	s_add_co_i32 s4, s4, 1
	s_add_co_i32 s6, s6, 1
	s_and_b32 s3, ttmp6, 15
	s_bfe_u32 s7, ttmp6, 0x40004
	s_mul_i32 s4, ttmp9, s4
	s_mul_i32 s6, s5, s6
	s_getreg_b32 s12, hwreg(HW_REG_IB_STS2, 6, 4)
	v_bfe_u32 v1, v0, 10, 10
	v_and_b32_e32 v0, 0x3ff, v0
	s_add_co_i32 s3, s3, s4
	s_add_co_i32 s7, s7, s6
	s_wait_kmcnt 0x0
	s_and_b32 s4, s2, 0xffff
	s_lshr_b32 s2, s2, 16
	s_cmp_eq_u32 s12, 0
	s_cselect_b32 s3, ttmp9, s3
	s_cselect_b32 s5, s5, s7
	v_mad_u32 v6, s3, s4, v0
	v_mad_u32 v7, s5, s2, v1
	s_mov_b32 s3, 0
	s_delay_alu instid0(VALU_DEP_2) | instskip(NEXT) | instid1(VALU_DEP_2)
	v_cmp_gt_i32_e32 vcc_lo, s16, v6
	v_cmp_gt_i32_e64 s2, s17, v7
	s_and_b32 s2, vcc_lo, s2
	s_delay_alu instid0(SALU_CYCLE_1)
	s_and_saveexec_b32 s4, s2
	s_cbranch_execz .LBB16_6
; %bb.1:
	s_load_b256 s[4:11], s[0:1], 0x60
	s_bfe_u32 s2, ttmp6, 0x40014
	s_lshr_b32 s13, ttmp7, 16
	s_add_co_i32 s2, s2, 1
	s_bfe_u32 s14, ttmp6, 0x40008
	s_mul_i32 s2, s13, s2
	s_delay_alu instid0(SALU_CYCLE_1)
	s_add_co_i32 s14, s14, s2
	s_cmp_eq_u32 s12, 0
	s_cselect_b32 s2, s13, s14
	s_cmp_lt_i32 s18, 1
	s_cbranch_scc1 .LBB16_4
; %bb.2:
	s_clause 0x3
	s_load_b128 s[12:15], s[0:1], 0x20
	s_load_b64 s[16:17], s[0:1], 0x58
	s_load_b64 s[24:25], s[0:1], 0x30
	s_load_b128 s[20:23], s[0:1], 0x48
	s_wait_kmcnt 0x0
	s_mul_u64 s[4:5], s[4:5], s[2:3]
	v_mov_b64_e32 v[0:1], 0
	s_lshl_b64 s[4:5], s[4:5], 3
	s_load_b64 s[12:13], s[12:13], s2 offset:0x0 scale_offset
	v_mul_lo_u32 v2, v7, s17
	v_mul_lo_u32 v4, v6, s24
	s_lshl_b64 s[22:23], s[22:23], 3
	s_lshl_b64 s[14:15], s[14:15], 3
	s_add_nc_u64 s[4:5], s[4:5], s[22:23]
	s_ashr_i32 s17, s16, 31
	s_add_nc_u64 s[4:5], s[20:21], s[4:5]
	s_delay_alu instid0(VALU_DEP_1) | instskip(NEXT) | instid1(VALU_DEP_1)
	v_dual_ashrrev_i32 v3, 31, v2 :: v_dual_ashrrev_i32 v5, 31, v4
	v_lshl_add_u64 v[2:3], v[2:3], 3, s[4:5]
	s_lshl_b64 s[4:5], s[16:17], 3
	s_wait_kmcnt 0x0
	s_add_nc_u64 s[12:13], s[12:13], s[14:15]
	s_delay_alu instid0(SALU_CYCLE_1) | instskip(SKIP_2) | instid1(SALU_CYCLE_1)
	v_lshl_add_u64 v[4:5], v[4:5], 3, s[12:13]
	s_ashr_i32 s13, s25, 31
	s_mov_b32 s12, s25
	s_lshl_b64 s[12:13], s[12:13], 3
.LBB16_3:                               ; =>This Inner Loop Header: Depth=1
	flat_load_b64 v[8:9], v[4:5]
	global_load_b64 v[10:11], v[2:3], off
	s_wait_xcnt 0x0
	v_add_nc_u64_e32 v[2:3], s[4:5], v[2:3]
	v_add_nc_u64_e32 v[4:5], s[12:13], v[4:5]
	s_add_co_i32 s18, s18, -1
	s_delay_alu instid0(SALU_CYCLE_1)
	s_cmp_eq_u32 s18, 0
	s_wait_loadcnt_dscnt 0x0
	v_fmac_f64_e32 v[0:1], v[8:9], v[10:11]
	s_cbranch_scc0 .LBB16_3
	s_branch .LBB16_5
.LBB16_4:
	v_mov_b64_e32 v[0:1], 0
.LBB16_5:
	s_wait_kmcnt 0x0
	s_load_b64 s[2:3], s[8:9], s2 offset:0x0 scale_offset
	s_nop 0
	s_load_b64 s[4:5], s[0:1], 0x80
	s_wait_kmcnt 0x0
	v_mul_lo_u32 v2, v6, s4
	s_load_b64 s[0:1], s[0:1], 0x10
	s_delay_alu instid0(VALU_DEP_1) | instskip(SKIP_1) | instid1(SALU_CYCLE_1)
	v_mad_u32 v4, v7, s5, v2
	s_lshl_b64 s[4:5], s[10:11], 3
	s_add_nc_u64 s[2:3], s[2:3], s[4:5]
	flat_load_b64 v[2:3], v4, s[2:3] scale_offset
	s_wait_loadcnt_dscnt 0x0
	v_mul_f64_e32 v[2:3], s[6:7], v[2:3]
	s_wait_kmcnt 0x0
	s_delay_alu instid0(VALU_DEP_1)
	v_fmac_f64_e32 v[2:3], s[0:1], v[0:1]
	flat_store_b64 v4, v[2:3], s[2:3] scale_offset
.LBB16_6:
	s_endpgm
	.section	.rodata,"a",@progbits
	.p2align	6, 0x0
	.amdhsa_kernel _ZN9rocsolver6v33100L11gemm_kernelIdidPKPdS2_S4_EEvT0_S5_S5_T1_bT2_lS5_S5_lbT3_lS5_S5_lS6_T4_lS5_S5_l
		.amdhsa_group_segment_fixed_size 0
		.amdhsa_private_segment_fixed_size 0
		.amdhsa_kernarg_size 400
		.amdhsa_user_sgpr_count 2
		.amdhsa_user_sgpr_dispatch_ptr 0
		.amdhsa_user_sgpr_queue_ptr 0
		.amdhsa_user_sgpr_kernarg_segment_ptr 1
		.amdhsa_user_sgpr_dispatch_id 0
		.amdhsa_user_sgpr_kernarg_preload_length 0
		.amdhsa_user_sgpr_kernarg_preload_offset 0
		.amdhsa_user_sgpr_private_segment_size 0
		.amdhsa_wavefront_size32 1
		.amdhsa_uses_dynamic_stack 0
		.amdhsa_enable_private_segment 0
		.amdhsa_system_sgpr_workgroup_id_x 1
		.amdhsa_system_sgpr_workgroup_id_y 1
		.amdhsa_system_sgpr_workgroup_id_z 1
		.amdhsa_system_sgpr_workgroup_info 0
		.amdhsa_system_vgpr_workitem_id 1
		.amdhsa_next_free_vgpr 12
		.amdhsa_next_free_sgpr 26
		.amdhsa_named_barrier_count 0
		.amdhsa_reserve_vcc 1
		.amdhsa_float_round_mode_32 0
		.amdhsa_float_round_mode_16_64 0
		.amdhsa_float_denorm_mode_32 3
		.amdhsa_float_denorm_mode_16_64 3
		.amdhsa_fp16_overflow 0
		.amdhsa_memory_ordered 1
		.amdhsa_forward_progress 1
		.amdhsa_inst_pref_size 5
		.amdhsa_round_robin_scheduling 0
		.amdhsa_exception_fp_ieee_invalid_op 0
		.amdhsa_exception_fp_denorm_src 0
		.amdhsa_exception_fp_ieee_div_zero 0
		.amdhsa_exception_fp_ieee_overflow 0
		.amdhsa_exception_fp_ieee_underflow 0
		.amdhsa_exception_fp_ieee_inexact 0
		.amdhsa_exception_int_div_zero 0
	.end_amdhsa_kernel
	.section	.text._ZN9rocsolver6v33100L11gemm_kernelIdidPKPdS2_S4_EEvT0_S5_S5_T1_bT2_lS5_S5_lbT3_lS5_S5_lS6_T4_lS5_S5_l,"axG",@progbits,_ZN9rocsolver6v33100L11gemm_kernelIdidPKPdS2_S4_EEvT0_S5_S5_T1_bT2_lS5_S5_lbT3_lS5_S5_lS6_T4_lS5_S5_l,comdat
.Lfunc_end16:
	.size	_ZN9rocsolver6v33100L11gemm_kernelIdidPKPdS2_S4_EEvT0_S5_S5_T1_bT2_lS5_S5_lbT3_lS5_S5_lS6_T4_lS5_S5_l, .Lfunc_end16-_ZN9rocsolver6v33100L11gemm_kernelIdidPKPdS2_S4_EEvT0_S5_S5_T1_bT2_lS5_S5_lbT3_lS5_S5_lS6_T4_lS5_S5_l
                                        ; -- End function
	.set _ZN9rocsolver6v33100L11gemm_kernelIdidPKPdS2_S4_EEvT0_S5_S5_T1_bT2_lS5_S5_lbT3_lS5_S5_lS6_T4_lS5_S5_l.num_vgpr, 12
	.set _ZN9rocsolver6v33100L11gemm_kernelIdidPKPdS2_S4_EEvT0_S5_S5_T1_bT2_lS5_S5_lbT3_lS5_S5_lS6_T4_lS5_S5_l.num_agpr, 0
	.set _ZN9rocsolver6v33100L11gemm_kernelIdidPKPdS2_S4_EEvT0_S5_S5_T1_bT2_lS5_S5_lbT3_lS5_S5_lS6_T4_lS5_S5_l.numbered_sgpr, 26
	.set _ZN9rocsolver6v33100L11gemm_kernelIdidPKPdS2_S4_EEvT0_S5_S5_T1_bT2_lS5_S5_lbT3_lS5_S5_lS6_T4_lS5_S5_l.num_named_barrier, 0
	.set _ZN9rocsolver6v33100L11gemm_kernelIdidPKPdS2_S4_EEvT0_S5_S5_T1_bT2_lS5_S5_lbT3_lS5_S5_lS6_T4_lS5_S5_l.private_seg_size, 0
	.set _ZN9rocsolver6v33100L11gemm_kernelIdidPKPdS2_S4_EEvT0_S5_S5_T1_bT2_lS5_S5_lbT3_lS5_S5_lS6_T4_lS5_S5_l.uses_vcc, 1
	.set _ZN9rocsolver6v33100L11gemm_kernelIdidPKPdS2_S4_EEvT0_S5_S5_T1_bT2_lS5_S5_lbT3_lS5_S5_lS6_T4_lS5_S5_l.uses_flat_scratch, 0
	.set _ZN9rocsolver6v33100L11gemm_kernelIdidPKPdS2_S4_EEvT0_S5_S5_T1_bT2_lS5_S5_lbT3_lS5_S5_lS6_T4_lS5_S5_l.has_dyn_sized_stack, 0
	.set _ZN9rocsolver6v33100L11gemm_kernelIdidPKPdS2_S4_EEvT0_S5_S5_T1_bT2_lS5_S5_lbT3_lS5_S5_lS6_T4_lS5_S5_l.has_recursion, 0
	.set _ZN9rocsolver6v33100L11gemm_kernelIdidPKPdS2_S4_EEvT0_S5_S5_T1_bT2_lS5_S5_lbT3_lS5_S5_lS6_T4_lS5_S5_l.has_indirect_call, 0
	.section	.AMDGPU.csdata,"",@progbits
; Kernel info:
; codeLenInByte = 576
; TotalNumSgprs: 28
; NumVgprs: 12
; ScratchSize: 0
; MemoryBound: 0
; FloatMode: 240
; IeeeMode: 1
; LDSByteSize: 0 bytes/workgroup (compile time only)
; SGPRBlocks: 0
; VGPRBlocks: 0
; NumSGPRsForWavesPerEU: 28
; NumVGPRsForWavesPerEU: 12
; NamedBarCnt: 0
; Occupancy: 16
; WaveLimiterHint : 1
; COMPUTE_PGM_RSRC2:SCRATCH_EN: 0
; COMPUTE_PGM_RSRC2:USER_SGPR: 2
; COMPUTE_PGM_RSRC2:TRAP_HANDLER: 0
; COMPUTE_PGM_RSRC2:TGID_X_EN: 1
; COMPUTE_PGM_RSRC2:TGID_Y_EN: 1
; COMPUTE_PGM_RSRC2:TGID_Z_EN: 1
; COMPUTE_PGM_RSRC2:TIDIG_COMP_CNT: 1
	.section	.text._ZN9rocsolver6v33100L16mfma_gemm_kernelIdiPKdPKPdS6_S4_EEv18rocblas_operation_S7_T0_S8_S8_T1_T2_lS8_S8_lT3_lS8_S8_lS9_T4_lS8_S8_l,"axG",@progbits,_ZN9rocsolver6v33100L16mfma_gemm_kernelIdiPKdPKPdS6_S4_EEv18rocblas_operation_S7_T0_S8_S8_T1_T2_lS8_S8_lT3_lS8_S8_lS9_T4_lS8_S8_l,comdat
	.globl	_ZN9rocsolver6v33100L16mfma_gemm_kernelIdiPKdPKPdS6_S4_EEv18rocblas_operation_S7_T0_S8_S8_T1_T2_lS8_S8_lT3_lS8_S8_lS9_T4_lS8_S8_l ; -- Begin function _ZN9rocsolver6v33100L16mfma_gemm_kernelIdiPKdPKPdS6_S4_EEv18rocblas_operation_S7_T0_S8_S8_T1_T2_lS8_S8_lT3_lS8_S8_lS9_T4_lS8_S8_l
	.p2align	8
	.type	_ZN9rocsolver6v33100L16mfma_gemm_kernelIdiPKdPKPdS6_S4_EEv18rocblas_operation_S7_T0_S8_S8_T1_T2_lS8_S8_lT3_lS8_S8_lS9_T4_lS8_S8_l,@function
_ZN9rocsolver6v33100L16mfma_gemm_kernelIdiPKdPKPdS6_S4_EEv18rocblas_operation_S7_T0_S8_S8_T1_T2_lS8_S8_lT3_lS8_S8_lS9_T4_lS8_S8_l: ; @_ZN9rocsolver6v33100L16mfma_gemm_kernelIdiPKdPKPdS6_S4_EEv18rocblas_operation_S7_T0_S8_S8_T1_T2_lS8_S8_lT3_lS8_S8_lS9_T4_lS8_S8_l
; %bb.0:
	s_endpgm
	.section	.rodata,"a",@progbits
	.p2align	6, 0x0
	.amdhsa_kernel _ZN9rocsolver6v33100L16mfma_gemm_kernelIdiPKdPKPdS6_S4_EEv18rocblas_operation_S7_T0_S8_S8_T1_T2_lS8_S8_lT3_lS8_S8_lS9_T4_lS8_S8_l
		.amdhsa_group_segment_fixed_size 0
		.amdhsa_private_segment_fixed_size 0
		.amdhsa_kernarg_size 136
		.amdhsa_user_sgpr_count 2
		.amdhsa_user_sgpr_dispatch_ptr 0
		.amdhsa_user_sgpr_queue_ptr 0
		.amdhsa_user_sgpr_kernarg_segment_ptr 1
		.amdhsa_user_sgpr_dispatch_id 0
		.amdhsa_user_sgpr_kernarg_preload_length 0
		.amdhsa_user_sgpr_kernarg_preload_offset 0
		.amdhsa_user_sgpr_private_segment_size 0
		.amdhsa_wavefront_size32 1
		.amdhsa_uses_dynamic_stack 0
		.amdhsa_enable_private_segment 0
		.amdhsa_system_sgpr_workgroup_id_x 1
		.amdhsa_system_sgpr_workgroup_id_y 0
		.amdhsa_system_sgpr_workgroup_id_z 0
		.amdhsa_system_sgpr_workgroup_info 0
		.amdhsa_system_vgpr_workitem_id 0
		.amdhsa_next_free_vgpr 1
		.amdhsa_next_free_sgpr 1
		.amdhsa_named_barrier_count 0
		.amdhsa_reserve_vcc 0
		.amdhsa_float_round_mode_32 0
		.amdhsa_float_round_mode_16_64 0
		.amdhsa_float_denorm_mode_32 3
		.amdhsa_float_denorm_mode_16_64 3
		.amdhsa_fp16_overflow 0
		.amdhsa_memory_ordered 1
		.amdhsa_forward_progress 1
		.amdhsa_inst_pref_size 1
		.amdhsa_round_robin_scheduling 0
		.amdhsa_exception_fp_ieee_invalid_op 0
		.amdhsa_exception_fp_denorm_src 0
		.amdhsa_exception_fp_ieee_div_zero 0
		.amdhsa_exception_fp_ieee_overflow 0
		.amdhsa_exception_fp_ieee_underflow 0
		.amdhsa_exception_fp_ieee_inexact 0
		.amdhsa_exception_int_div_zero 0
	.end_amdhsa_kernel
	.section	.text._ZN9rocsolver6v33100L16mfma_gemm_kernelIdiPKdPKPdS6_S4_EEv18rocblas_operation_S7_T0_S8_S8_T1_T2_lS8_S8_lT3_lS8_S8_lS9_T4_lS8_S8_l,"axG",@progbits,_ZN9rocsolver6v33100L16mfma_gemm_kernelIdiPKdPKPdS6_S4_EEv18rocblas_operation_S7_T0_S8_S8_T1_T2_lS8_S8_lT3_lS8_S8_lS9_T4_lS8_S8_l,comdat
.Lfunc_end17:
	.size	_ZN9rocsolver6v33100L16mfma_gemm_kernelIdiPKdPKPdS6_S4_EEv18rocblas_operation_S7_T0_S8_S8_T1_T2_lS8_S8_lT3_lS8_S8_lS9_T4_lS8_S8_l, .Lfunc_end17-_ZN9rocsolver6v33100L16mfma_gemm_kernelIdiPKdPKPdS6_S4_EEv18rocblas_operation_S7_T0_S8_S8_T1_T2_lS8_S8_lT3_lS8_S8_lS9_T4_lS8_S8_l
                                        ; -- End function
	.set _ZN9rocsolver6v33100L16mfma_gemm_kernelIdiPKdPKPdS6_S4_EEv18rocblas_operation_S7_T0_S8_S8_T1_T2_lS8_S8_lT3_lS8_S8_lS9_T4_lS8_S8_l.num_vgpr, 0
	.set _ZN9rocsolver6v33100L16mfma_gemm_kernelIdiPKdPKPdS6_S4_EEv18rocblas_operation_S7_T0_S8_S8_T1_T2_lS8_S8_lT3_lS8_S8_lS9_T4_lS8_S8_l.num_agpr, 0
	.set _ZN9rocsolver6v33100L16mfma_gemm_kernelIdiPKdPKPdS6_S4_EEv18rocblas_operation_S7_T0_S8_S8_T1_T2_lS8_S8_lT3_lS8_S8_lS9_T4_lS8_S8_l.numbered_sgpr, 0
	.set _ZN9rocsolver6v33100L16mfma_gemm_kernelIdiPKdPKPdS6_S4_EEv18rocblas_operation_S7_T0_S8_S8_T1_T2_lS8_S8_lT3_lS8_S8_lS9_T4_lS8_S8_l.num_named_barrier, 0
	.set _ZN9rocsolver6v33100L16mfma_gemm_kernelIdiPKdPKPdS6_S4_EEv18rocblas_operation_S7_T0_S8_S8_T1_T2_lS8_S8_lT3_lS8_S8_lS9_T4_lS8_S8_l.private_seg_size, 0
	.set _ZN9rocsolver6v33100L16mfma_gemm_kernelIdiPKdPKPdS6_S4_EEv18rocblas_operation_S7_T0_S8_S8_T1_T2_lS8_S8_lT3_lS8_S8_lS9_T4_lS8_S8_l.uses_vcc, 0
	.set _ZN9rocsolver6v33100L16mfma_gemm_kernelIdiPKdPKPdS6_S4_EEv18rocblas_operation_S7_T0_S8_S8_T1_T2_lS8_S8_lT3_lS8_S8_lS9_T4_lS8_S8_l.uses_flat_scratch, 0
	.set _ZN9rocsolver6v33100L16mfma_gemm_kernelIdiPKdPKPdS6_S4_EEv18rocblas_operation_S7_T0_S8_S8_T1_T2_lS8_S8_lT3_lS8_S8_lS9_T4_lS8_S8_l.has_dyn_sized_stack, 0
	.set _ZN9rocsolver6v33100L16mfma_gemm_kernelIdiPKdPKPdS6_S4_EEv18rocblas_operation_S7_T0_S8_S8_T1_T2_lS8_S8_lT3_lS8_S8_lS9_T4_lS8_S8_l.has_recursion, 0
	.set _ZN9rocsolver6v33100L16mfma_gemm_kernelIdiPKdPKPdS6_S4_EEv18rocblas_operation_S7_T0_S8_S8_T1_T2_lS8_S8_lT3_lS8_S8_lS9_T4_lS8_S8_l.has_indirect_call, 0
	.section	.AMDGPU.csdata,"",@progbits
; Kernel info:
; codeLenInByte = 4
; TotalNumSgprs: 0
; NumVgprs: 0
; ScratchSize: 0
; MemoryBound: 0
; FloatMode: 240
; IeeeMode: 1
; LDSByteSize: 0 bytes/workgroup (compile time only)
; SGPRBlocks: 0
; VGPRBlocks: 0
; NumSGPRsForWavesPerEU: 1
; NumVGPRsForWavesPerEU: 1
; NamedBarCnt: 0
; Occupancy: 16
; WaveLimiterHint : 0
; COMPUTE_PGM_RSRC2:SCRATCH_EN: 0
; COMPUTE_PGM_RSRC2:USER_SGPR: 2
; COMPUTE_PGM_RSRC2:TRAP_HANDLER: 0
; COMPUTE_PGM_RSRC2:TGID_X_EN: 1
; COMPUTE_PGM_RSRC2:TGID_Y_EN: 0
; COMPUTE_PGM_RSRC2:TGID_Z_EN: 0
; COMPUTE_PGM_RSRC2:TIDIG_COMP_CNT: 0
	.section	.text._ZN9rocsolver6v33100L16mfma_gemm_kernelIdidPKPdS4_S2_EEv18rocblas_operation_S5_T0_S6_S6_T1_T2_lS6_S6_lT3_lS6_S6_lS7_T4_lS6_S6_l,"axG",@progbits,_ZN9rocsolver6v33100L16mfma_gemm_kernelIdidPKPdS4_S2_EEv18rocblas_operation_S5_T0_S6_S6_T1_T2_lS6_S6_lT3_lS6_S6_lS7_T4_lS6_S6_l,comdat
	.globl	_ZN9rocsolver6v33100L16mfma_gemm_kernelIdidPKPdS4_S2_EEv18rocblas_operation_S5_T0_S6_S6_T1_T2_lS6_S6_lT3_lS6_S6_lS7_T4_lS6_S6_l ; -- Begin function _ZN9rocsolver6v33100L16mfma_gemm_kernelIdidPKPdS4_S2_EEv18rocblas_operation_S5_T0_S6_S6_T1_T2_lS6_S6_lT3_lS6_S6_lS7_T4_lS6_S6_l
	.p2align	8
	.type	_ZN9rocsolver6v33100L16mfma_gemm_kernelIdidPKPdS4_S2_EEv18rocblas_operation_S5_T0_S6_S6_T1_T2_lS6_S6_lT3_lS6_S6_lS7_T4_lS6_S6_l,@function
_ZN9rocsolver6v33100L16mfma_gemm_kernelIdidPKPdS4_S2_EEv18rocblas_operation_S5_T0_S6_S6_T1_T2_lS6_S6_lT3_lS6_S6_lS7_T4_lS6_S6_l: ; @_ZN9rocsolver6v33100L16mfma_gemm_kernelIdidPKPdS4_S2_EEv18rocblas_operation_S5_T0_S6_S6_T1_T2_lS6_S6_lT3_lS6_S6_lS7_T4_lS6_S6_l
; %bb.0:
	s_endpgm
	.section	.rodata,"a",@progbits
	.p2align	6, 0x0
	.amdhsa_kernel _ZN9rocsolver6v33100L16mfma_gemm_kernelIdidPKPdS4_S2_EEv18rocblas_operation_S5_T0_S6_S6_T1_T2_lS6_S6_lT3_lS6_S6_lS7_T4_lS6_S6_l
		.amdhsa_group_segment_fixed_size 0
		.amdhsa_private_segment_fixed_size 0
		.amdhsa_kernarg_size 136
		.amdhsa_user_sgpr_count 2
		.amdhsa_user_sgpr_dispatch_ptr 0
		.amdhsa_user_sgpr_queue_ptr 0
		.amdhsa_user_sgpr_kernarg_segment_ptr 1
		.amdhsa_user_sgpr_dispatch_id 0
		.amdhsa_user_sgpr_kernarg_preload_length 0
		.amdhsa_user_sgpr_kernarg_preload_offset 0
		.amdhsa_user_sgpr_private_segment_size 0
		.amdhsa_wavefront_size32 1
		.amdhsa_uses_dynamic_stack 0
		.amdhsa_enable_private_segment 0
		.amdhsa_system_sgpr_workgroup_id_x 1
		.amdhsa_system_sgpr_workgroup_id_y 0
		.amdhsa_system_sgpr_workgroup_id_z 0
		.amdhsa_system_sgpr_workgroup_info 0
		.amdhsa_system_vgpr_workitem_id 0
		.amdhsa_next_free_vgpr 1
		.amdhsa_next_free_sgpr 1
		.amdhsa_named_barrier_count 0
		.amdhsa_reserve_vcc 0
		.amdhsa_float_round_mode_32 0
		.amdhsa_float_round_mode_16_64 0
		.amdhsa_float_denorm_mode_32 3
		.amdhsa_float_denorm_mode_16_64 3
		.amdhsa_fp16_overflow 0
		.amdhsa_memory_ordered 1
		.amdhsa_forward_progress 1
		.amdhsa_inst_pref_size 1
		.amdhsa_round_robin_scheduling 0
		.amdhsa_exception_fp_ieee_invalid_op 0
		.amdhsa_exception_fp_denorm_src 0
		.amdhsa_exception_fp_ieee_div_zero 0
		.amdhsa_exception_fp_ieee_overflow 0
		.amdhsa_exception_fp_ieee_underflow 0
		.amdhsa_exception_fp_ieee_inexact 0
		.amdhsa_exception_int_div_zero 0
	.end_amdhsa_kernel
	.section	.text._ZN9rocsolver6v33100L16mfma_gemm_kernelIdidPKPdS4_S2_EEv18rocblas_operation_S5_T0_S6_S6_T1_T2_lS6_S6_lT3_lS6_S6_lS7_T4_lS6_S6_l,"axG",@progbits,_ZN9rocsolver6v33100L16mfma_gemm_kernelIdidPKPdS4_S2_EEv18rocblas_operation_S5_T0_S6_S6_T1_T2_lS6_S6_lT3_lS6_S6_lS7_T4_lS6_S6_l,comdat
.Lfunc_end18:
	.size	_ZN9rocsolver6v33100L16mfma_gemm_kernelIdidPKPdS4_S2_EEv18rocblas_operation_S5_T0_S6_S6_T1_T2_lS6_S6_lT3_lS6_S6_lS7_T4_lS6_S6_l, .Lfunc_end18-_ZN9rocsolver6v33100L16mfma_gemm_kernelIdidPKPdS4_S2_EEv18rocblas_operation_S5_T0_S6_S6_T1_T2_lS6_S6_lT3_lS6_S6_lS7_T4_lS6_S6_l
                                        ; -- End function
	.set _ZN9rocsolver6v33100L16mfma_gemm_kernelIdidPKPdS4_S2_EEv18rocblas_operation_S5_T0_S6_S6_T1_T2_lS6_S6_lT3_lS6_S6_lS7_T4_lS6_S6_l.num_vgpr, 0
	.set _ZN9rocsolver6v33100L16mfma_gemm_kernelIdidPKPdS4_S2_EEv18rocblas_operation_S5_T0_S6_S6_T1_T2_lS6_S6_lT3_lS6_S6_lS7_T4_lS6_S6_l.num_agpr, 0
	.set _ZN9rocsolver6v33100L16mfma_gemm_kernelIdidPKPdS4_S2_EEv18rocblas_operation_S5_T0_S6_S6_T1_T2_lS6_S6_lT3_lS6_S6_lS7_T4_lS6_S6_l.numbered_sgpr, 0
	.set _ZN9rocsolver6v33100L16mfma_gemm_kernelIdidPKPdS4_S2_EEv18rocblas_operation_S5_T0_S6_S6_T1_T2_lS6_S6_lT3_lS6_S6_lS7_T4_lS6_S6_l.num_named_barrier, 0
	.set _ZN9rocsolver6v33100L16mfma_gemm_kernelIdidPKPdS4_S2_EEv18rocblas_operation_S5_T0_S6_S6_T1_T2_lS6_S6_lT3_lS6_S6_lS7_T4_lS6_S6_l.private_seg_size, 0
	.set _ZN9rocsolver6v33100L16mfma_gemm_kernelIdidPKPdS4_S2_EEv18rocblas_operation_S5_T0_S6_S6_T1_T2_lS6_S6_lT3_lS6_S6_lS7_T4_lS6_S6_l.uses_vcc, 0
	.set _ZN9rocsolver6v33100L16mfma_gemm_kernelIdidPKPdS4_S2_EEv18rocblas_operation_S5_T0_S6_S6_T1_T2_lS6_S6_lT3_lS6_S6_lS7_T4_lS6_S6_l.uses_flat_scratch, 0
	.set _ZN9rocsolver6v33100L16mfma_gemm_kernelIdidPKPdS4_S2_EEv18rocblas_operation_S5_T0_S6_S6_T1_T2_lS6_S6_lT3_lS6_S6_lS7_T4_lS6_S6_l.has_dyn_sized_stack, 0
	.set _ZN9rocsolver6v33100L16mfma_gemm_kernelIdidPKPdS4_S2_EEv18rocblas_operation_S5_T0_S6_S6_T1_T2_lS6_S6_lT3_lS6_S6_lS7_T4_lS6_S6_l.has_recursion, 0
	.set _ZN9rocsolver6v33100L16mfma_gemm_kernelIdidPKPdS4_S2_EEv18rocblas_operation_S5_T0_S6_S6_T1_T2_lS6_S6_lT3_lS6_S6_lS7_T4_lS6_S6_l.has_indirect_call, 0
	.section	.AMDGPU.csdata,"",@progbits
; Kernel info:
; codeLenInByte = 4
; TotalNumSgprs: 0
; NumVgprs: 0
; ScratchSize: 0
; MemoryBound: 0
; FloatMode: 240
; IeeeMode: 1
; LDSByteSize: 0 bytes/workgroup (compile time only)
; SGPRBlocks: 0
; VGPRBlocks: 0
; NumSGPRsForWavesPerEU: 1
; NumVGPRsForWavesPerEU: 1
; NamedBarCnt: 0
; Occupancy: 16
; WaveLimiterHint : 0
; COMPUTE_PGM_RSRC2:SCRATCH_EN: 0
; COMPUTE_PGM_RSRC2:USER_SGPR: 2
; COMPUTE_PGM_RSRC2:TRAP_HANDLER: 0
; COMPUTE_PGM_RSRC2:TGID_X_EN: 1
; COMPUTE_PGM_RSRC2:TGID_Y_EN: 0
; COMPUTE_PGM_RSRC2:TGID_Z_EN: 0
; COMPUTE_PGM_RSRC2:TIDIG_COMP_CNT: 0
	.section	.text._ZN9rocsolver6v33100L11gemm_kernelIdiPKdPKPdS6_S4_EEvT0_S7_S7_T1_bT2_lS7_S7_lbT3_lS7_S7_lS8_T4_lS7_S7_l,"axG",@progbits,_ZN9rocsolver6v33100L11gemm_kernelIdiPKdPKPdS6_S4_EEvT0_S7_S7_T1_bT2_lS7_S7_lbT3_lS7_S7_lS8_T4_lS7_S7_l,comdat
	.globl	_ZN9rocsolver6v33100L11gemm_kernelIdiPKdPKPdS6_S4_EEvT0_S7_S7_T1_bT2_lS7_S7_lbT3_lS7_S7_lS8_T4_lS7_S7_l ; -- Begin function _ZN9rocsolver6v33100L11gemm_kernelIdiPKdPKPdS6_S4_EEvT0_S7_S7_T1_bT2_lS7_S7_lbT3_lS7_S7_lS8_T4_lS7_S7_l
	.p2align	8
	.type	_ZN9rocsolver6v33100L11gemm_kernelIdiPKdPKPdS6_S4_EEvT0_S7_S7_T1_bT2_lS7_S7_lbT3_lS7_S7_lS8_T4_lS7_S7_l,@function
_ZN9rocsolver6v33100L11gemm_kernelIdiPKdPKPdS6_S4_EEvT0_S7_S7_T1_bT2_lS7_S7_lbT3_lS7_S7_lS8_T4_lS7_S7_l: ; @_ZN9rocsolver6v33100L11gemm_kernelIdiPKdPKPdS6_S4_EEvT0_S7_S7_T1_bT2_lS7_S7_lbT3_lS7_S7_lS8_T4_lS7_S7_l
; %bb.0:
	s_clause 0x1
	s_load_b32 s2, s[0:1], 0x9c
	s_load_b96 s[8:10], s[0:1], 0x0
	s_bfe_u32 s4, ttmp6, 0x4000c
	s_bfe_u32 s6, ttmp6, 0x40010
	s_and_b32 s5, ttmp7, 0xffff
	s_add_co_i32 s4, s4, 1
	s_add_co_i32 s6, s6, 1
	s_and_b32 s3, ttmp6, 15
	s_bfe_u32 s7, ttmp6, 0x40004
	s_mul_i32 s4, ttmp9, s4
	s_mul_i32 s6, s5, s6
	s_getreg_b32 s11, hwreg(HW_REG_IB_STS2, 6, 4)
	v_bfe_u32 v1, v0, 10, 10
	v_and_b32_e32 v0, 0x3ff, v0
	s_add_co_i32 s3, s3, s4
	s_add_co_i32 s7, s7, s6
	s_wait_kmcnt 0x0
	s_and_b32 s4, s2, 0xffff
	s_lshr_b32 s2, s2, 16
	s_cmp_eq_u32 s11, 0
	s_cselect_b32 s3, ttmp9, s3
	s_cselect_b32 s5, s5, s7
	v_mad_u32 v6, s3, s4, v0
	v_mad_u32 v7, s5, s2, v1
	s_mov_b32 s3, 0
	s_delay_alu instid0(VALU_DEP_2) | instskip(NEXT) | instid1(VALU_DEP_2)
	v_cmp_gt_i32_e32 vcc_lo, s8, v6
	v_cmp_gt_i32_e64 s2, s9, v7
	s_and_b32 s2, vcc_lo, s2
	s_delay_alu instid0(SALU_CYCLE_1)
	s_and_saveexec_b32 s4, s2
	s_cbranch_execz .LBB19_6
; %bb.1:
	s_clause 0x2
	s_load_b64 s[8:9], s[0:1], 0x78
	s_load_b64 s[12:13], s[0:1], 0x10
	s_load_b128 s[4:7], s[0:1], 0x68
	s_bfe_u32 s2, ttmp6, 0x40014
	s_lshr_b32 s14, ttmp7, 16
	s_add_co_i32 s2, s2, 1
	s_bfe_u32 s15, ttmp6, 0x40008
	s_mul_i32 s2, s14, s2
	s_delay_alu instid0(SALU_CYCLE_1)
	s_add_co_i32 s15, s15, s2
	s_cmp_eq_u32 s11, 0
	s_cselect_b32 s2, s14, s15
	s_cmp_lt_i32 s10, 1
	s_cbranch_scc1 .LBB19_4
; %bb.2:
	s_clause 0x3
	s_load_b128 s[16:19], s[0:1], 0x48
	s_load_b128 s[20:23], s[0:1], 0x20
	s_load_b64 s[14:15], s[0:1], 0x58
	s_load_b64 s[24:25], s[0:1], 0x30
	v_mov_b64_e32 v[0:1], 0
	s_wait_kmcnt 0x0
	s_load_b64 s[26:27], s[16:17], s2 offset:0x0 scale_offset
	s_load_b64 s[28:29], s[20:21], s2 offset:0x0 scale_offset
	v_mul_lo_u32 v2, v7, s15
	v_mul_lo_u32 v4, v6, s24
	s_wait_xcnt 0x0
	s_lshl_b64 s[16:17], s[18:19], 3
	s_lshl_b64 s[18:19], s[22:23], 3
	s_ashr_i32 s15, s14, 31
	s_delay_alu instid0(SALU_CYCLE_1) | instskip(NEXT) | instid1(VALU_DEP_1)
	s_lshl_b64 s[14:15], s[14:15], 3
	v_dual_ashrrev_i32 v3, 31, v2 :: v_dual_ashrrev_i32 v5, 31, v4
	s_wait_kmcnt 0x0
	s_add_nc_u64 s[16:17], s[26:27], s[16:17]
	s_add_nc_u64 s[18:19], s[28:29], s[18:19]
	s_delay_alu instid0(VALU_DEP_1) | instskip(SKIP_3) | instid1(SALU_CYCLE_1)
	v_lshl_add_u64 v[2:3], v[2:3], 3, s[16:17]
	v_lshl_add_u64 v[4:5], v[4:5], 3, s[18:19]
	s_ashr_i32 s17, s25, 31
	s_mov_b32 s16, s25
	s_lshl_b64 s[16:17], s[16:17], 3
.LBB19_3:                               ; =>This Inner Loop Header: Depth=1
	flat_load_b64 v[8:9], v[4:5]
	flat_load_b64 v[10:11], v[2:3]
	s_wait_xcnt 0x0
	v_add_nc_u64_e32 v[2:3], s[14:15], v[2:3]
	v_add_nc_u64_e32 v[4:5], s[16:17], v[4:5]
	s_add_co_i32 s10, s10, -1
	s_delay_alu instid0(SALU_CYCLE_1)
	s_cmp_eq_u32 s10, 0
	s_wait_loadcnt_dscnt 0x0
	v_fmac_f64_e32 v[0:1], v[8:9], v[10:11]
	s_cbranch_scc0 .LBB19_3
	s_branch .LBB19_5
.LBB19_4:
	v_mov_b64_e32 v[0:1], 0
.LBB19_5:
	s_wait_kmcnt 0x0
	s_load_b64 s[10:11], s[12:13], 0x0
	s_load_b64 s[14:15], s[4:5], 0x0
                                        ; kill: killed $sgpr12_sgpr13
                                        ; kill: killed $sgpr4_sgpr5
	s_load_b128 s[16:19], s[0:1], 0x80
	s_wait_kmcnt 0x0
	v_mul_lo_u32 v2, v6, s16
	s_mul_u64 s[0:1], s[18:19], s[2:3]
	s_lshl_b64 s[2:3], s[8:9], 3
	s_lshl_b64 s[0:1], s[0:1], 3
	s_delay_alu instid0(SALU_CYCLE_1) | instskip(NEXT) | instid1(SALU_CYCLE_1)
	s_add_nc_u64 s[0:1], s[6:7], s[0:1]
	s_add_nc_u64 s[0:1], s[0:1], s[2:3]
	s_delay_alu instid0(VALU_DEP_1) | instskip(SKIP_3) | instid1(VALU_DEP_1)
	v_mad_u32 v4, v7, s17, v2
	global_load_b64 v[2:3], v4, s[0:1] scale_offset
	s_wait_loadcnt 0x0
	v_mul_f64_e32 v[2:3], s[14:15], v[2:3]
	v_fmac_f64_e32 v[2:3], s[10:11], v[0:1]
	global_store_b64 v4, v[2:3], s[0:1] scale_offset
.LBB19_6:
	s_endpgm
	.section	.rodata,"a",@progbits
	.p2align	6, 0x0
	.amdhsa_kernel _ZN9rocsolver6v33100L11gemm_kernelIdiPKdPKPdS6_S4_EEvT0_S7_S7_T1_bT2_lS7_S7_lbT3_lS7_S7_lS8_T4_lS7_S7_l
		.amdhsa_group_segment_fixed_size 0
		.amdhsa_private_segment_fixed_size 0
		.amdhsa_kernarg_size 400
		.amdhsa_user_sgpr_count 2
		.amdhsa_user_sgpr_dispatch_ptr 0
		.amdhsa_user_sgpr_queue_ptr 0
		.amdhsa_user_sgpr_kernarg_segment_ptr 1
		.amdhsa_user_sgpr_dispatch_id 0
		.amdhsa_user_sgpr_kernarg_preload_length 0
		.amdhsa_user_sgpr_kernarg_preload_offset 0
		.amdhsa_user_sgpr_private_segment_size 0
		.amdhsa_wavefront_size32 1
		.amdhsa_uses_dynamic_stack 0
		.amdhsa_enable_private_segment 0
		.amdhsa_system_sgpr_workgroup_id_x 1
		.amdhsa_system_sgpr_workgroup_id_y 1
		.amdhsa_system_sgpr_workgroup_id_z 1
		.amdhsa_system_sgpr_workgroup_info 0
		.amdhsa_system_vgpr_workitem_id 1
		.amdhsa_next_free_vgpr 12
		.amdhsa_next_free_sgpr 30
		.amdhsa_named_barrier_count 0
		.amdhsa_reserve_vcc 1
		.amdhsa_float_round_mode_32 0
		.amdhsa_float_round_mode_16_64 0
		.amdhsa_float_denorm_mode_32 3
		.amdhsa_float_denorm_mode_16_64 3
		.amdhsa_fp16_overflow 0
		.amdhsa_memory_ordered 1
		.amdhsa_forward_progress 1
		.amdhsa_inst_pref_size 5
		.amdhsa_round_robin_scheduling 0
		.amdhsa_exception_fp_ieee_invalid_op 0
		.amdhsa_exception_fp_denorm_src 0
		.amdhsa_exception_fp_ieee_div_zero 0
		.amdhsa_exception_fp_ieee_overflow 0
		.amdhsa_exception_fp_ieee_underflow 0
		.amdhsa_exception_fp_ieee_inexact 0
		.amdhsa_exception_int_div_zero 0
	.end_amdhsa_kernel
	.section	.text._ZN9rocsolver6v33100L11gemm_kernelIdiPKdPKPdS6_S4_EEvT0_S7_S7_T1_bT2_lS7_S7_lbT3_lS7_S7_lS8_T4_lS7_S7_l,"axG",@progbits,_ZN9rocsolver6v33100L11gemm_kernelIdiPKdPKPdS6_S4_EEvT0_S7_S7_T1_bT2_lS7_S7_lbT3_lS7_S7_lS8_T4_lS7_S7_l,comdat
.Lfunc_end19:
	.size	_ZN9rocsolver6v33100L11gemm_kernelIdiPKdPKPdS6_S4_EEvT0_S7_S7_T1_bT2_lS7_S7_lbT3_lS7_S7_lS8_T4_lS7_S7_l, .Lfunc_end19-_ZN9rocsolver6v33100L11gemm_kernelIdiPKdPKPdS6_S4_EEvT0_S7_S7_T1_bT2_lS7_S7_lbT3_lS7_S7_lS8_T4_lS7_S7_l
                                        ; -- End function
	.set _ZN9rocsolver6v33100L11gemm_kernelIdiPKdPKPdS6_S4_EEvT0_S7_S7_T1_bT2_lS7_S7_lbT3_lS7_S7_lS8_T4_lS7_S7_l.num_vgpr, 12
	.set _ZN9rocsolver6v33100L11gemm_kernelIdiPKdPKPdS6_S4_EEvT0_S7_S7_T1_bT2_lS7_S7_lbT3_lS7_S7_lS8_T4_lS7_S7_l.num_agpr, 0
	.set _ZN9rocsolver6v33100L11gemm_kernelIdiPKdPKPdS6_S4_EEvT0_S7_S7_T1_bT2_lS7_S7_lbT3_lS7_S7_lS8_T4_lS7_S7_l.numbered_sgpr, 30
	.set _ZN9rocsolver6v33100L11gemm_kernelIdiPKdPKPdS6_S4_EEvT0_S7_S7_T1_bT2_lS7_S7_lbT3_lS7_S7_lS8_T4_lS7_S7_l.num_named_barrier, 0
	.set _ZN9rocsolver6v33100L11gemm_kernelIdiPKdPKPdS6_S4_EEvT0_S7_S7_T1_bT2_lS7_S7_lbT3_lS7_S7_lS8_T4_lS7_S7_l.private_seg_size, 0
	.set _ZN9rocsolver6v33100L11gemm_kernelIdiPKdPKPdS6_S4_EEvT0_S7_S7_T1_bT2_lS7_S7_lbT3_lS7_S7_lS8_T4_lS7_S7_l.uses_vcc, 1
	.set _ZN9rocsolver6v33100L11gemm_kernelIdiPKdPKPdS6_S4_EEvT0_S7_S7_T1_bT2_lS7_S7_lbT3_lS7_S7_lS8_T4_lS7_S7_l.uses_flat_scratch, 0
	.set _ZN9rocsolver6v33100L11gemm_kernelIdiPKdPKPdS6_S4_EEvT0_S7_S7_T1_bT2_lS7_S7_lbT3_lS7_S7_lS8_T4_lS7_S7_l.has_dyn_sized_stack, 0
	.set _ZN9rocsolver6v33100L11gemm_kernelIdiPKdPKPdS6_S4_EEvT0_S7_S7_T1_bT2_lS7_S7_lbT3_lS7_S7_lS8_T4_lS7_S7_l.has_recursion, 0
	.set _ZN9rocsolver6v33100L11gemm_kernelIdiPKdPKPdS6_S4_EEvT0_S7_S7_T1_bT2_lS7_S7_lbT3_lS7_S7_lS8_T4_lS7_S7_l.has_indirect_call, 0
	.section	.AMDGPU.csdata,"",@progbits
; Kernel info:
; codeLenInByte = 600
; TotalNumSgprs: 32
; NumVgprs: 12
; ScratchSize: 0
; MemoryBound: 0
; FloatMode: 240
; IeeeMode: 1
; LDSByteSize: 0 bytes/workgroup (compile time only)
; SGPRBlocks: 0
; VGPRBlocks: 0
; NumSGPRsForWavesPerEU: 32
; NumVGPRsForWavesPerEU: 12
; NamedBarCnt: 0
; Occupancy: 16
; WaveLimiterHint : 1
; COMPUTE_PGM_RSRC2:SCRATCH_EN: 0
; COMPUTE_PGM_RSRC2:USER_SGPR: 2
; COMPUTE_PGM_RSRC2:TRAP_HANDLER: 0
; COMPUTE_PGM_RSRC2:TGID_X_EN: 1
; COMPUTE_PGM_RSRC2:TGID_Y_EN: 1
; COMPUTE_PGM_RSRC2:TGID_Z_EN: 1
; COMPUTE_PGM_RSRC2:TIDIG_COMP_CNT: 1
	.section	.text._ZN9rocsolver6v33100L11gemm_kernelIdidPKPdS4_S2_EEvT0_S5_S5_T1_bT2_lS5_S5_lbT3_lS5_S5_lS6_T4_lS5_S5_l,"axG",@progbits,_ZN9rocsolver6v33100L11gemm_kernelIdidPKPdS4_S2_EEvT0_S5_S5_T1_bT2_lS5_S5_lbT3_lS5_S5_lS6_T4_lS5_S5_l,comdat
	.globl	_ZN9rocsolver6v33100L11gemm_kernelIdidPKPdS4_S2_EEvT0_S5_S5_T1_bT2_lS5_S5_lbT3_lS5_S5_lS6_T4_lS5_S5_l ; -- Begin function _ZN9rocsolver6v33100L11gemm_kernelIdidPKPdS4_S2_EEvT0_S5_S5_T1_bT2_lS5_S5_lbT3_lS5_S5_lS6_T4_lS5_S5_l
	.p2align	8
	.type	_ZN9rocsolver6v33100L11gemm_kernelIdidPKPdS4_S2_EEvT0_S5_S5_T1_bT2_lS5_S5_lbT3_lS5_S5_lS6_T4_lS5_S5_l,@function
_ZN9rocsolver6v33100L11gemm_kernelIdidPKPdS4_S2_EEvT0_S5_S5_T1_bT2_lS5_S5_lbT3_lS5_S5_lS6_T4_lS5_S5_l: ; @_ZN9rocsolver6v33100L11gemm_kernelIdidPKPdS4_S2_EEvT0_S5_S5_T1_bT2_lS5_S5_lbT3_lS5_S5_lS6_T4_lS5_S5_l
; %bb.0:
	s_clause 0x1
	s_load_b32 s2, s[0:1], 0x9c
	s_load_b96 s[4:6], s[0:1], 0x0
	s_bfe_u32 s8, ttmp6, 0x4000c
	s_bfe_u32 s10, ttmp6, 0x40010
	s_and_b32 s9, ttmp7, 0xffff
	s_add_co_i32 s8, s8, 1
	s_add_co_i32 s10, s10, 1
	s_and_b32 s3, ttmp6, 15
	s_bfe_u32 s11, ttmp6, 0x40004
	s_mul_i32 s8, ttmp9, s8
	s_mul_i32 s10, s9, s10
	s_getreg_b32 s7, hwreg(HW_REG_IB_STS2, 6, 4)
	v_bfe_u32 v1, v0, 10, 10
	v_and_b32_e32 v0, 0x3ff, v0
	s_add_co_i32 s3, s3, s8
	s_add_co_i32 s11, s11, s10
	s_wait_kmcnt 0x0
	s_and_b32 s8, s2, 0xffff
	s_lshr_b32 s2, s2, 16
	s_cmp_eq_u32 s7, 0
	s_cselect_b32 s3, ttmp9, s3
	s_cselect_b32 s9, s9, s11
	v_mad_u32 v6, s3, s8, v0
	v_mad_u32 v7, s9, s2, v1
	s_mov_b32 s3, 0
	s_delay_alu instid0(VALU_DEP_2) | instskip(NEXT) | instid1(VALU_DEP_2)
	v_cmp_gt_i32_e32 vcc_lo, s4, v6
	v_cmp_gt_i32_e64 s2, s5, v7
	s_and_b32 s2, vcc_lo, s2
	s_delay_alu instid0(SALU_CYCLE_1)
	s_and_saveexec_b32 s4, s2
	s_cbranch_execz .LBB20_6
; %bb.1:
	s_bfe_u32 s2, ttmp6, 0x40014
	s_lshr_b32 s4, ttmp7, 16
	s_add_co_i32 s2, s2, 1
	s_bfe_u32 s5, ttmp6, 0x40008
	s_mul_i32 s2, s4, s2
	s_delay_alu instid0(SALU_CYCLE_1)
	s_add_co_i32 s5, s5, s2
	s_cmp_eq_u32 s7, 0
	s_cselect_b32 s2, s4, s5
	s_cmp_lt_i32 s6, 1
	s_cbranch_scc1 .LBB20_4
; %bb.2:
	s_clause 0x3
	s_load_b128 s[8:11], s[0:1], 0x48
	s_load_b128 s[12:15], s[0:1], 0x20
	s_load_b64 s[4:5], s[0:1], 0x58
	s_load_b64 s[16:17], s[0:1], 0x30
	v_mov_b64_e32 v[0:1], 0
	s_wait_kmcnt 0x0
	s_load_b64 s[18:19], s[8:9], s2 offset:0x0 scale_offset
	s_load_b64 s[20:21], s[12:13], s2 offset:0x0 scale_offset
	v_mul_lo_u32 v2, v7, s5
	v_mul_lo_u32 v4, v6, s16
	s_wait_xcnt 0x0
	s_lshl_b64 s[8:9], s[10:11], 3
	s_lshl_b64 s[10:11], s[14:15], 3
	s_ashr_i32 s5, s4, 31
	s_delay_alu instid0(SALU_CYCLE_1) | instskip(NEXT) | instid1(VALU_DEP_1)
	s_lshl_b64 s[4:5], s[4:5], 3
	v_dual_ashrrev_i32 v3, 31, v2 :: v_dual_ashrrev_i32 v5, 31, v4
	s_wait_kmcnt 0x0
	s_add_nc_u64 s[8:9], s[18:19], s[8:9]
	s_add_nc_u64 s[10:11], s[20:21], s[10:11]
	s_delay_alu instid0(VALU_DEP_1) | instskip(SKIP_3) | instid1(SALU_CYCLE_1)
	v_lshl_add_u64 v[2:3], v[2:3], 3, s[8:9]
	v_lshl_add_u64 v[4:5], v[4:5], 3, s[10:11]
	s_ashr_i32 s9, s17, 31
	s_mov_b32 s8, s17
	s_lshl_b64 s[8:9], s[8:9], 3
.LBB20_3:                               ; =>This Inner Loop Header: Depth=1
	flat_load_b64 v[8:9], v[4:5]
	flat_load_b64 v[10:11], v[2:3]
	s_wait_xcnt 0x0
	v_add_nc_u64_e32 v[2:3], s[4:5], v[2:3]
	v_add_nc_u64_e32 v[4:5], s[8:9], v[4:5]
	s_add_co_i32 s6, s6, -1
	s_delay_alu instid0(SALU_CYCLE_1)
	s_cmp_eq_u32 s6, 0
	s_wait_loadcnt_dscnt 0x0
	v_fmac_f64_e32 v[0:1], v[8:9], v[10:11]
	s_cbranch_scc0 .LBB20_3
	s_branch .LBB20_5
.LBB20_4:
	v_mov_b64_e32 v[0:1], 0
.LBB20_5:
	s_clause 0x1
	s_load_b256 s[4:11], s[0:1], 0x68
	s_load_b64 s[12:13], s[0:1], 0x88
	s_wait_kmcnt 0x0
	v_mul_lo_u32 v2, v6, s10
	s_mul_u64 s[2:3], s[12:13], s[2:3]
	s_load_b64 s[0:1], s[0:1], 0x10
	s_lshl_b64 s[2:3], s[2:3], 3
	s_delay_alu instid0(SALU_CYCLE_1) | instskip(SKIP_1) | instid1(SALU_CYCLE_1)
	s_add_nc_u64 s[2:3], s[6:7], s[2:3]
	s_lshl_b64 s[6:7], s[8:9], 3
	s_add_nc_u64 s[2:3], s[2:3], s[6:7]
	s_delay_alu instid0(VALU_DEP_1) | instskip(SKIP_4) | instid1(VALU_DEP_1)
	v_mad_u32 v4, v7, s11, v2
	global_load_b64 v[2:3], v4, s[2:3] scale_offset
	s_wait_loadcnt 0x0
	v_mul_f64_e32 v[2:3], s[4:5], v[2:3]
	s_wait_kmcnt 0x0
	v_fmac_f64_e32 v[2:3], s[0:1], v[0:1]
	global_store_b64 v4, v[2:3], s[2:3] scale_offset
.LBB20_6:
	s_endpgm
	.section	.rodata,"a",@progbits
	.p2align	6, 0x0
	.amdhsa_kernel _ZN9rocsolver6v33100L11gemm_kernelIdidPKPdS4_S2_EEvT0_S5_S5_T1_bT2_lS5_S5_lbT3_lS5_S5_lS6_T4_lS5_S5_l
		.amdhsa_group_segment_fixed_size 0
		.amdhsa_private_segment_fixed_size 0
		.amdhsa_kernarg_size 400
		.amdhsa_user_sgpr_count 2
		.amdhsa_user_sgpr_dispatch_ptr 0
		.amdhsa_user_sgpr_queue_ptr 0
		.amdhsa_user_sgpr_kernarg_segment_ptr 1
		.amdhsa_user_sgpr_dispatch_id 0
		.amdhsa_user_sgpr_kernarg_preload_length 0
		.amdhsa_user_sgpr_kernarg_preload_offset 0
		.amdhsa_user_sgpr_private_segment_size 0
		.amdhsa_wavefront_size32 1
		.amdhsa_uses_dynamic_stack 0
		.amdhsa_enable_private_segment 0
		.amdhsa_system_sgpr_workgroup_id_x 1
		.amdhsa_system_sgpr_workgroup_id_y 1
		.amdhsa_system_sgpr_workgroup_id_z 1
		.amdhsa_system_sgpr_workgroup_info 0
		.amdhsa_system_vgpr_workitem_id 1
		.amdhsa_next_free_vgpr 12
		.amdhsa_next_free_sgpr 22
		.amdhsa_named_barrier_count 0
		.amdhsa_reserve_vcc 1
		.amdhsa_float_round_mode_32 0
		.amdhsa_float_round_mode_16_64 0
		.amdhsa_float_denorm_mode_32 3
		.amdhsa_float_denorm_mode_16_64 3
		.amdhsa_fp16_overflow 0
		.amdhsa_memory_ordered 1
		.amdhsa_forward_progress 1
		.amdhsa_inst_pref_size 5
		.amdhsa_round_robin_scheduling 0
		.amdhsa_exception_fp_ieee_invalid_op 0
		.amdhsa_exception_fp_denorm_src 0
		.amdhsa_exception_fp_ieee_div_zero 0
		.amdhsa_exception_fp_ieee_overflow 0
		.amdhsa_exception_fp_ieee_underflow 0
		.amdhsa_exception_fp_ieee_inexact 0
		.amdhsa_exception_int_div_zero 0
	.end_amdhsa_kernel
	.section	.text._ZN9rocsolver6v33100L11gemm_kernelIdidPKPdS4_S2_EEvT0_S5_S5_T1_bT2_lS5_S5_lbT3_lS5_S5_lS6_T4_lS5_S5_l,"axG",@progbits,_ZN9rocsolver6v33100L11gemm_kernelIdidPKPdS4_S2_EEvT0_S5_S5_T1_bT2_lS5_S5_lbT3_lS5_S5_lS6_T4_lS5_S5_l,comdat
.Lfunc_end20:
	.size	_ZN9rocsolver6v33100L11gemm_kernelIdidPKPdS4_S2_EEvT0_S5_S5_T1_bT2_lS5_S5_lbT3_lS5_S5_lS6_T4_lS5_S5_l, .Lfunc_end20-_ZN9rocsolver6v33100L11gemm_kernelIdidPKPdS4_S2_EEvT0_S5_S5_T1_bT2_lS5_S5_lbT3_lS5_S5_lS6_T4_lS5_S5_l
                                        ; -- End function
	.set _ZN9rocsolver6v33100L11gemm_kernelIdidPKPdS4_S2_EEvT0_S5_S5_T1_bT2_lS5_S5_lbT3_lS5_S5_lS6_T4_lS5_S5_l.num_vgpr, 12
	.set _ZN9rocsolver6v33100L11gemm_kernelIdidPKPdS4_S2_EEvT0_S5_S5_T1_bT2_lS5_S5_lbT3_lS5_S5_lS6_T4_lS5_S5_l.num_agpr, 0
	.set _ZN9rocsolver6v33100L11gemm_kernelIdidPKPdS4_S2_EEvT0_S5_S5_T1_bT2_lS5_S5_lbT3_lS5_S5_lS6_T4_lS5_S5_l.numbered_sgpr, 22
	.set _ZN9rocsolver6v33100L11gemm_kernelIdidPKPdS4_S2_EEvT0_S5_S5_T1_bT2_lS5_S5_lbT3_lS5_S5_lS6_T4_lS5_S5_l.num_named_barrier, 0
	.set _ZN9rocsolver6v33100L11gemm_kernelIdidPKPdS4_S2_EEvT0_S5_S5_T1_bT2_lS5_S5_lbT3_lS5_S5_lS6_T4_lS5_S5_l.private_seg_size, 0
	.set _ZN9rocsolver6v33100L11gemm_kernelIdidPKPdS4_S2_EEvT0_S5_S5_T1_bT2_lS5_S5_lbT3_lS5_S5_lS6_T4_lS5_S5_l.uses_vcc, 1
	.set _ZN9rocsolver6v33100L11gemm_kernelIdidPKPdS4_S2_EEvT0_S5_S5_T1_bT2_lS5_S5_lbT3_lS5_S5_lS6_T4_lS5_S5_l.uses_flat_scratch, 0
	.set _ZN9rocsolver6v33100L11gemm_kernelIdidPKPdS4_S2_EEvT0_S5_S5_T1_bT2_lS5_S5_lbT3_lS5_S5_lS6_T4_lS5_S5_l.has_dyn_sized_stack, 0
	.set _ZN9rocsolver6v33100L11gemm_kernelIdidPKPdS4_S2_EEvT0_S5_S5_T1_bT2_lS5_S5_lbT3_lS5_S5_lS6_T4_lS5_S5_l.has_recursion, 0
	.set _ZN9rocsolver6v33100L11gemm_kernelIdidPKPdS4_S2_EEvT0_S5_S5_T1_bT2_lS5_S5_lbT3_lS5_S5_lS6_T4_lS5_S5_l.has_indirect_call, 0
	.section	.AMDGPU.csdata,"",@progbits
; Kernel info:
; codeLenInByte = 576
; TotalNumSgprs: 24
; NumVgprs: 12
; ScratchSize: 0
; MemoryBound: 0
; FloatMode: 240
; IeeeMode: 1
; LDSByteSize: 0 bytes/workgroup (compile time only)
; SGPRBlocks: 0
; VGPRBlocks: 0
; NumSGPRsForWavesPerEU: 24
; NumVGPRsForWavesPerEU: 12
; NamedBarCnt: 0
; Occupancy: 16
; WaveLimiterHint : 1
; COMPUTE_PGM_RSRC2:SCRATCH_EN: 0
; COMPUTE_PGM_RSRC2:USER_SGPR: 2
; COMPUTE_PGM_RSRC2:TRAP_HANDLER: 0
; COMPUTE_PGM_RSRC2:TGID_X_EN: 1
; COMPUTE_PGM_RSRC2:TGID_Y_EN: 1
; COMPUTE_PGM_RSRC2:TGID_Z_EN: 1
; COMPUTE_PGM_RSRC2:TIDIG_COMP_CNT: 1
	.section	.text._ZN9rocsolver6v33100L16mfma_gemm_kernelIdiPKdPKPdS4_S4_EEv18rocblas_operation_S7_T0_S8_S8_T1_T2_lS8_S8_lT3_lS8_S8_lS9_T4_lS8_S8_l,"axG",@progbits,_ZN9rocsolver6v33100L16mfma_gemm_kernelIdiPKdPKPdS4_S4_EEv18rocblas_operation_S7_T0_S8_S8_T1_T2_lS8_S8_lT3_lS8_S8_lS9_T4_lS8_S8_l,comdat
	.globl	_ZN9rocsolver6v33100L16mfma_gemm_kernelIdiPKdPKPdS4_S4_EEv18rocblas_operation_S7_T0_S8_S8_T1_T2_lS8_S8_lT3_lS8_S8_lS9_T4_lS8_S8_l ; -- Begin function _ZN9rocsolver6v33100L16mfma_gemm_kernelIdiPKdPKPdS4_S4_EEv18rocblas_operation_S7_T0_S8_S8_T1_T2_lS8_S8_lT3_lS8_S8_lS9_T4_lS8_S8_l
	.p2align	8
	.type	_ZN9rocsolver6v33100L16mfma_gemm_kernelIdiPKdPKPdS4_S4_EEv18rocblas_operation_S7_T0_S8_S8_T1_T2_lS8_S8_lT3_lS8_S8_lS9_T4_lS8_S8_l,@function
_ZN9rocsolver6v33100L16mfma_gemm_kernelIdiPKdPKPdS4_S4_EEv18rocblas_operation_S7_T0_S8_S8_T1_T2_lS8_S8_lT3_lS8_S8_lS9_T4_lS8_S8_l: ; @_ZN9rocsolver6v33100L16mfma_gemm_kernelIdiPKdPKPdS4_S4_EEv18rocblas_operation_S7_T0_S8_S8_T1_T2_lS8_S8_lT3_lS8_S8_lS9_T4_lS8_S8_l
; %bb.0:
	s_endpgm
	.section	.rodata,"a",@progbits
	.p2align	6, 0x0
	.amdhsa_kernel _ZN9rocsolver6v33100L16mfma_gemm_kernelIdiPKdPKPdS4_S4_EEv18rocblas_operation_S7_T0_S8_S8_T1_T2_lS8_S8_lT3_lS8_S8_lS9_T4_lS8_S8_l
		.amdhsa_group_segment_fixed_size 0
		.amdhsa_private_segment_fixed_size 0
		.amdhsa_kernarg_size 136
		.amdhsa_user_sgpr_count 2
		.amdhsa_user_sgpr_dispatch_ptr 0
		.amdhsa_user_sgpr_queue_ptr 0
		.amdhsa_user_sgpr_kernarg_segment_ptr 1
		.amdhsa_user_sgpr_dispatch_id 0
		.amdhsa_user_sgpr_kernarg_preload_length 0
		.amdhsa_user_sgpr_kernarg_preload_offset 0
		.amdhsa_user_sgpr_private_segment_size 0
		.amdhsa_wavefront_size32 1
		.amdhsa_uses_dynamic_stack 0
		.amdhsa_enable_private_segment 0
		.amdhsa_system_sgpr_workgroup_id_x 1
		.amdhsa_system_sgpr_workgroup_id_y 0
		.amdhsa_system_sgpr_workgroup_id_z 0
		.amdhsa_system_sgpr_workgroup_info 0
		.amdhsa_system_vgpr_workitem_id 0
		.amdhsa_next_free_vgpr 1
		.amdhsa_next_free_sgpr 1
		.amdhsa_named_barrier_count 0
		.amdhsa_reserve_vcc 0
		.amdhsa_float_round_mode_32 0
		.amdhsa_float_round_mode_16_64 0
		.amdhsa_float_denorm_mode_32 3
		.amdhsa_float_denorm_mode_16_64 3
		.amdhsa_fp16_overflow 0
		.amdhsa_memory_ordered 1
		.amdhsa_forward_progress 1
		.amdhsa_inst_pref_size 1
		.amdhsa_round_robin_scheduling 0
		.amdhsa_exception_fp_ieee_invalid_op 0
		.amdhsa_exception_fp_denorm_src 0
		.amdhsa_exception_fp_ieee_div_zero 0
		.amdhsa_exception_fp_ieee_overflow 0
		.amdhsa_exception_fp_ieee_underflow 0
		.amdhsa_exception_fp_ieee_inexact 0
		.amdhsa_exception_int_div_zero 0
	.end_amdhsa_kernel
	.section	.text._ZN9rocsolver6v33100L16mfma_gemm_kernelIdiPKdPKPdS4_S4_EEv18rocblas_operation_S7_T0_S8_S8_T1_T2_lS8_S8_lT3_lS8_S8_lS9_T4_lS8_S8_l,"axG",@progbits,_ZN9rocsolver6v33100L16mfma_gemm_kernelIdiPKdPKPdS4_S4_EEv18rocblas_operation_S7_T0_S8_S8_T1_T2_lS8_S8_lT3_lS8_S8_lS9_T4_lS8_S8_l,comdat
.Lfunc_end21:
	.size	_ZN9rocsolver6v33100L16mfma_gemm_kernelIdiPKdPKPdS4_S4_EEv18rocblas_operation_S7_T0_S8_S8_T1_T2_lS8_S8_lT3_lS8_S8_lS9_T4_lS8_S8_l, .Lfunc_end21-_ZN9rocsolver6v33100L16mfma_gemm_kernelIdiPKdPKPdS4_S4_EEv18rocblas_operation_S7_T0_S8_S8_T1_T2_lS8_S8_lT3_lS8_S8_lS9_T4_lS8_S8_l
                                        ; -- End function
	.set _ZN9rocsolver6v33100L16mfma_gemm_kernelIdiPKdPKPdS4_S4_EEv18rocblas_operation_S7_T0_S8_S8_T1_T2_lS8_S8_lT3_lS8_S8_lS9_T4_lS8_S8_l.num_vgpr, 0
	.set _ZN9rocsolver6v33100L16mfma_gemm_kernelIdiPKdPKPdS4_S4_EEv18rocblas_operation_S7_T0_S8_S8_T1_T2_lS8_S8_lT3_lS8_S8_lS9_T4_lS8_S8_l.num_agpr, 0
	.set _ZN9rocsolver6v33100L16mfma_gemm_kernelIdiPKdPKPdS4_S4_EEv18rocblas_operation_S7_T0_S8_S8_T1_T2_lS8_S8_lT3_lS8_S8_lS9_T4_lS8_S8_l.numbered_sgpr, 0
	.set _ZN9rocsolver6v33100L16mfma_gemm_kernelIdiPKdPKPdS4_S4_EEv18rocblas_operation_S7_T0_S8_S8_T1_T2_lS8_S8_lT3_lS8_S8_lS9_T4_lS8_S8_l.num_named_barrier, 0
	.set _ZN9rocsolver6v33100L16mfma_gemm_kernelIdiPKdPKPdS4_S4_EEv18rocblas_operation_S7_T0_S8_S8_T1_T2_lS8_S8_lT3_lS8_S8_lS9_T4_lS8_S8_l.private_seg_size, 0
	.set _ZN9rocsolver6v33100L16mfma_gemm_kernelIdiPKdPKPdS4_S4_EEv18rocblas_operation_S7_T0_S8_S8_T1_T2_lS8_S8_lT3_lS8_S8_lS9_T4_lS8_S8_l.uses_vcc, 0
	.set _ZN9rocsolver6v33100L16mfma_gemm_kernelIdiPKdPKPdS4_S4_EEv18rocblas_operation_S7_T0_S8_S8_T1_T2_lS8_S8_lT3_lS8_S8_lS9_T4_lS8_S8_l.uses_flat_scratch, 0
	.set _ZN9rocsolver6v33100L16mfma_gemm_kernelIdiPKdPKPdS4_S4_EEv18rocblas_operation_S7_T0_S8_S8_T1_T2_lS8_S8_lT3_lS8_S8_lS9_T4_lS8_S8_l.has_dyn_sized_stack, 0
	.set _ZN9rocsolver6v33100L16mfma_gemm_kernelIdiPKdPKPdS4_S4_EEv18rocblas_operation_S7_T0_S8_S8_T1_T2_lS8_S8_lT3_lS8_S8_lS9_T4_lS8_S8_l.has_recursion, 0
	.set _ZN9rocsolver6v33100L16mfma_gemm_kernelIdiPKdPKPdS4_S4_EEv18rocblas_operation_S7_T0_S8_S8_T1_T2_lS8_S8_lT3_lS8_S8_lS9_T4_lS8_S8_l.has_indirect_call, 0
	.section	.AMDGPU.csdata,"",@progbits
; Kernel info:
; codeLenInByte = 4
; TotalNumSgprs: 0
; NumVgprs: 0
; ScratchSize: 0
; MemoryBound: 0
; FloatMode: 240
; IeeeMode: 1
; LDSByteSize: 0 bytes/workgroup (compile time only)
; SGPRBlocks: 0
; VGPRBlocks: 0
; NumSGPRsForWavesPerEU: 1
; NumVGPRsForWavesPerEU: 1
; NamedBarCnt: 0
; Occupancy: 16
; WaveLimiterHint : 0
; COMPUTE_PGM_RSRC2:SCRATCH_EN: 0
; COMPUTE_PGM_RSRC2:USER_SGPR: 2
; COMPUTE_PGM_RSRC2:TRAP_HANDLER: 0
; COMPUTE_PGM_RSRC2:TGID_X_EN: 1
; COMPUTE_PGM_RSRC2:TGID_Y_EN: 0
; COMPUTE_PGM_RSRC2:TGID_Z_EN: 0
; COMPUTE_PGM_RSRC2:TIDIG_COMP_CNT: 0
	.section	.text._ZN9rocsolver6v33100L16mfma_gemm_kernelIdidPKPdS2_S2_EEv18rocblas_operation_S5_T0_S6_S6_T1_T2_lS6_S6_lT3_lS6_S6_lS7_T4_lS6_S6_l,"axG",@progbits,_ZN9rocsolver6v33100L16mfma_gemm_kernelIdidPKPdS2_S2_EEv18rocblas_operation_S5_T0_S6_S6_T1_T2_lS6_S6_lT3_lS6_S6_lS7_T4_lS6_S6_l,comdat
	.globl	_ZN9rocsolver6v33100L16mfma_gemm_kernelIdidPKPdS2_S2_EEv18rocblas_operation_S5_T0_S6_S6_T1_T2_lS6_S6_lT3_lS6_S6_lS7_T4_lS6_S6_l ; -- Begin function _ZN9rocsolver6v33100L16mfma_gemm_kernelIdidPKPdS2_S2_EEv18rocblas_operation_S5_T0_S6_S6_T1_T2_lS6_S6_lT3_lS6_S6_lS7_T4_lS6_S6_l
	.p2align	8
	.type	_ZN9rocsolver6v33100L16mfma_gemm_kernelIdidPKPdS2_S2_EEv18rocblas_operation_S5_T0_S6_S6_T1_T2_lS6_S6_lT3_lS6_S6_lS7_T4_lS6_S6_l,@function
_ZN9rocsolver6v33100L16mfma_gemm_kernelIdidPKPdS2_S2_EEv18rocblas_operation_S5_T0_S6_S6_T1_T2_lS6_S6_lT3_lS6_S6_lS7_T4_lS6_S6_l: ; @_ZN9rocsolver6v33100L16mfma_gemm_kernelIdidPKPdS2_S2_EEv18rocblas_operation_S5_T0_S6_S6_T1_T2_lS6_S6_lT3_lS6_S6_lS7_T4_lS6_S6_l
; %bb.0:
	s_endpgm
	.section	.rodata,"a",@progbits
	.p2align	6, 0x0
	.amdhsa_kernel _ZN9rocsolver6v33100L16mfma_gemm_kernelIdidPKPdS2_S2_EEv18rocblas_operation_S5_T0_S6_S6_T1_T2_lS6_S6_lT3_lS6_S6_lS7_T4_lS6_S6_l
		.amdhsa_group_segment_fixed_size 0
		.amdhsa_private_segment_fixed_size 0
		.amdhsa_kernarg_size 136
		.amdhsa_user_sgpr_count 2
		.amdhsa_user_sgpr_dispatch_ptr 0
		.amdhsa_user_sgpr_queue_ptr 0
		.amdhsa_user_sgpr_kernarg_segment_ptr 1
		.amdhsa_user_sgpr_dispatch_id 0
		.amdhsa_user_sgpr_kernarg_preload_length 0
		.amdhsa_user_sgpr_kernarg_preload_offset 0
		.amdhsa_user_sgpr_private_segment_size 0
		.amdhsa_wavefront_size32 1
		.amdhsa_uses_dynamic_stack 0
		.amdhsa_enable_private_segment 0
		.amdhsa_system_sgpr_workgroup_id_x 1
		.amdhsa_system_sgpr_workgroup_id_y 0
		.amdhsa_system_sgpr_workgroup_id_z 0
		.amdhsa_system_sgpr_workgroup_info 0
		.amdhsa_system_vgpr_workitem_id 0
		.amdhsa_next_free_vgpr 1
		.amdhsa_next_free_sgpr 1
		.amdhsa_named_barrier_count 0
		.amdhsa_reserve_vcc 0
		.amdhsa_float_round_mode_32 0
		.amdhsa_float_round_mode_16_64 0
		.amdhsa_float_denorm_mode_32 3
		.amdhsa_float_denorm_mode_16_64 3
		.amdhsa_fp16_overflow 0
		.amdhsa_memory_ordered 1
		.amdhsa_forward_progress 1
		.amdhsa_inst_pref_size 1
		.amdhsa_round_robin_scheduling 0
		.amdhsa_exception_fp_ieee_invalid_op 0
		.amdhsa_exception_fp_denorm_src 0
		.amdhsa_exception_fp_ieee_div_zero 0
		.amdhsa_exception_fp_ieee_overflow 0
		.amdhsa_exception_fp_ieee_underflow 0
		.amdhsa_exception_fp_ieee_inexact 0
		.amdhsa_exception_int_div_zero 0
	.end_amdhsa_kernel
	.section	.text._ZN9rocsolver6v33100L16mfma_gemm_kernelIdidPKPdS2_S2_EEv18rocblas_operation_S5_T0_S6_S6_T1_T2_lS6_S6_lT3_lS6_S6_lS7_T4_lS6_S6_l,"axG",@progbits,_ZN9rocsolver6v33100L16mfma_gemm_kernelIdidPKPdS2_S2_EEv18rocblas_operation_S5_T0_S6_S6_T1_T2_lS6_S6_lT3_lS6_S6_lS7_T4_lS6_S6_l,comdat
.Lfunc_end22:
	.size	_ZN9rocsolver6v33100L16mfma_gemm_kernelIdidPKPdS2_S2_EEv18rocblas_operation_S5_T0_S6_S6_T1_T2_lS6_S6_lT3_lS6_S6_lS7_T4_lS6_S6_l, .Lfunc_end22-_ZN9rocsolver6v33100L16mfma_gemm_kernelIdidPKPdS2_S2_EEv18rocblas_operation_S5_T0_S6_S6_T1_T2_lS6_S6_lT3_lS6_S6_lS7_T4_lS6_S6_l
                                        ; -- End function
	.set _ZN9rocsolver6v33100L16mfma_gemm_kernelIdidPKPdS2_S2_EEv18rocblas_operation_S5_T0_S6_S6_T1_T2_lS6_S6_lT3_lS6_S6_lS7_T4_lS6_S6_l.num_vgpr, 0
	.set _ZN9rocsolver6v33100L16mfma_gemm_kernelIdidPKPdS2_S2_EEv18rocblas_operation_S5_T0_S6_S6_T1_T2_lS6_S6_lT3_lS6_S6_lS7_T4_lS6_S6_l.num_agpr, 0
	.set _ZN9rocsolver6v33100L16mfma_gemm_kernelIdidPKPdS2_S2_EEv18rocblas_operation_S5_T0_S6_S6_T1_T2_lS6_S6_lT3_lS6_S6_lS7_T4_lS6_S6_l.numbered_sgpr, 0
	.set _ZN9rocsolver6v33100L16mfma_gemm_kernelIdidPKPdS2_S2_EEv18rocblas_operation_S5_T0_S6_S6_T1_T2_lS6_S6_lT3_lS6_S6_lS7_T4_lS6_S6_l.num_named_barrier, 0
	.set _ZN9rocsolver6v33100L16mfma_gemm_kernelIdidPKPdS2_S2_EEv18rocblas_operation_S5_T0_S6_S6_T1_T2_lS6_S6_lT3_lS6_S6_lS7_T4_lS6_S6_l.private_seg_size, 0
	.set _ZN9rocsolver6v33100L16mfma_gemm_kernelIdidPKPdS2_S2_EEv18rocblas_operation_S5_T0_S6_S6_T1_T2_lS6_S6_lT3_lS6_S6_lS7_T4_lS6_S6_l.uses_vcc, 0
	.set _ZN9rocsolver6v33100L16mfma_gemm_kernelIdidPKPdS2_S2_EEv18rocblas_operation_S5_T0_S6_S6_T1_T2_lS6_S6_lT3_lS6_S6_lS7_T4_lS6_S6_l.uses_flat_scratch, 0
	.set _ZN9rocsolver6v33100L16mfma_gemm_kernelIdidPKPdS2_S2_EEv18rocblas_operation_S5_T0_S6_S6_T1_T2_lS6_S6_lT3_lS6_S6_lS7_T4_lS6_S6_l.has_dyn_sized_stack, 0
	.set _ZN9rocsolver6v33100L16mfma_gemm_kernelIdidPKPdS2_S2_EEv18rocblas_operation_S5_T0_S6_S6_T1_T2_lS6_S6_lT3_lS6_S6_lS7_T4_lS6_S6_l.has_recursion, 0
	.set _ZN9rocsolver6v33100L16mfma_gemm_kernelIdidPKPdS2_S2_EEv18rocblas_operation_S5_T0_S6_S6_T1_T2_lS6_S6_lT3_lS6_S6_lS7_T4_lS6_S6_l.has_indirect_call, 0
	.section	.AMDGPU.csdata,"",@progbits
; Kernel info:
; codeLenInByte = 4
; TotalNumSgprs: 0
; NumVgprs: 0
; ScratchSize: 0
; MemoryBound: 0
; FloatMode: 240
; IeeeMode: 1
; LDSByteSize: 0 bytes/workgroup (compile time only)
; SGPRBlocks: 0
; VGPRBlocks: 0
; NumSGPRsForWavesPerEU: 1
; NumVGPRsForWavesPerEU: 1
; NamedBarCnt: 0
; Occupancy: 16
; WaveLimiterHint : 0
; COMPUTE_PGM_RSRC2:SCRATCH_EN: 0
; COMPUTE_PGM_RSRC2:USER_SGPR: 2
; COMPUTE_PGM_RSRC2:TRAP_HANDLER: 0
; COMPUTE_PGM_RSRC2:TGID_X_EN: 1
; COMPUTE_PGM_RSRC2:TGID_Y_EN: 0
; COMPUTE_PGM_RSRC2:TGID_Z_EN: 0
; COMPUTE_PGM_RSRC2:TIDIG_COMP_CNT: 0
	.section	.text._ZN9rocsolver6v33100L11gemm_kernelIdiPKdPKPdS4_S4_EEvT0_S7_S7_T1_bT2_lS7_S7_lbT3_lS7_S7_lS8_T4_lS7_S7_l,"axG",@progbits,_ZN9rocsolver6v33100L11gemm_kernelIdiPKdPKPdS4_S4_EEvT0_S7_S7_T1_bT2_lS7_S7_lbT3_lS7_S7_lS8_T4_lS7_S7_l,comdat
	.globl	_ZN9rocsolver6v33100L11gemm_kernelIdiPKdPKPdS4_S4_EEvT0_S7_S7_T1_bT2_lS7_S7_lbT3_lS7_S7_lS8_T4_lS7_S7_l ; -- Begin function _ZN9rocsolver6v33100L11gemm_kernelIdiPKdPKPdS4_S4_EEvT0_S7_S7_T1_bT2_lS7_S7_lbT3_lS7_S7_lS8_T4_lS7_S7_l
	.p2align	8
	.type	_ZN9rocsolver6v33100L11gemm_kernelIdiPKdPKPdS4_S4_EEvT0_S7_S7_T1_bT2_lS7_S7_lbT3_lS7_S7_lS8_T4_lS7_S7_l,@function
_ZN9rocsolver6v33100L11gemm_kernelIdiPKdPKPdS4_S4_EEvT0_S7_S7_T1_bT2_lS7_S7_lbT3_lS7_S7_lS8_T4_lS7_S7_l: ; @_ZN9rocsolver6v33100L11gemm_kernelIdiPKdPKPdS4_S4_EEvT0_S7_S7_T1_bT2_lS7_S7_lbT3_lS7_S7_lS8_T4_lS7_S7_l
; %bb.0:
	s_clause 0x1
	s_load_b32 s2, s[0:1], 0x9c
	s_load_b96 s[16:18], s[0:1], 0x0
	s_bfe_u32 s4, ttmp6, 0x4000c
	s_bfe_u32 s6, ttmp6, 0x40010
	s_and_b32 s5, ttmp7, 0xffff
	s_add_co_i32 s4, s4, 1
	s_add_co_i32 s6, s6, 1
	s_and_b32 s3, ttmp6, 15
	s_bfe_u32 s7, ttmp6, 0x40004
	s_mul_i32 s4, ttmp9, s4
	s_mul_i32 s6, s5, s6
	s_getreg_b32 s12, hwreg(HW_REG_IB_STS2, 6, 4)
	v_bfe_u32 v1, v0, 10, 10
	v_and_b32_e32 v0, 0x3ff, v0
	s_add_co_i32 s3, s3, s4
	s_add_co_i32 s7, s7, s6
	s_wait_kmcnt 0x0
	s_and_b32 s4, s2, 0xffff
	s_lshr_b32 s2, s2, 16
	s_cmp_eq_u32 s12, 0
	s_cselect_b32 s3, ttmp9, s3
	s_cselect_b32 s5, s5, s7
	v_mad_u32 v6, s3, s4, v0
	v_mad_u32 v7, s5, s2, v1
	s_mov_b32 s3, 0
	s_delay_alu instid0(VALU_DEP_2) | instskip(NEXT) | instid1(VALU_DEP_2)
	v_cmp_gt_i32_e32 vcc_lo, s16, v6
	v_cmp_gt_i32_e64 s2, s17, v7
	s_and_b32 s2, vcc_lo, s2
	s_delay_alu instid0(SALU_CYCLE_1)
	s_and_saveexec_b32 s4, s2
	s_cbranch_execz .LBB23_6
; %bb.1:
	s_clause 0x1
	s_load_b64 s[16:17], s[0:1], 0x10
	s_load_b256 s[4:11], s[0:1], 0x60
	s_bfe_u32 s2, ttmp6, 0x40014
	s_lshr_b32 s13, ttmp7, 16
	s_add_co_i32 s2, s2, 1
	s_bfe_u32 s14, ttmp6, 0x40008
	s_mul_i32 s2, s13, s2
	s_delay_alu instid0(SALU_CYCLE_1)
	s_add_co_i32 s14, s14, s2
	s_cmp_eq_u32 s12, 0
	s_cselect_b32 s2, s13, s14
	s_cmp_lt_i32 s18, 1
	s_cbranch_scc1 .LBB23_4
; %bb.2:
	s_clause 0x3
	s_load_b128 s[12:15], s[0:1], 0x20
	s_load_b64 s[24:25], s[0:1], 0x58
	s_load_b64 s[26:27], s[0:1], 0x30
	s_load_b128 s[20:23], s[0:1], 0x48
	s_wait_kmcnt 0x0
	s_mul_u64 s[4:5], s[4:5], s[2:3]
	v_mov_b64_e32 v[0:1], 0
	s_lshl_b64 s[4:5], s[4:5], 3
	s_load_b64 s[12:13], s[12:13], s2 offset:0x0 scale_offset
	v_mul_lo_u32 v2, v7, s25
	v_mul_lo_u32 v4, v6, s26
	s_lshl_b64 s[22:23], s[22:23], 3
	s_lshl_b64 s[14:15], s[14:15], 3
	s_add_nc_u64 s[4:5], s[4:5], s[22:23]
	s_ashr_i32 s25, s24, 31
	s_add_nc_u64 s[4:5], s[20:21], s[4:5]
	s_delay_alu instid0(VALU_DEP_1) | instskip(NEXT) | instid1(VALU_DEP_1)
	v_dual_ashrrev_i32 v3, 31, v2 :: v_dual_ashrrev_i32 v5, 31, v4
	v_lshl_add_u64 v[2:3], v[2:3], 3, s[4:5]
	s_lshl_b64 s[4:5], s[24:25], 3
	s_wait_kmcnt 0x0
	s_add_nc_u64 s[12:13], s[12:13], s[14:15]
	s_delay_alu instid0(SALU_CYCLE_1) | instskip(SKIP_2) | instid1(SALU_CYCLE_1)
	v_lshl_add_u64 v[4:5], v[4:5], 3, s[12:13]
	s_ashr_i32 s13, s27, 31
	s_mov_b32 s12, s27
	s_lshl_b64 s[12:13], s[12:13], 3
.LBB23_3:                               ; =>This Inner Loop Header: Depth=1
	flat_load_b64 v[8:9], v[4:5]
	global_load_b64 v[10:11], v[2:3], off
	s_wait_xcnt 0x0
	v_add_nc_u64_e32 v[2:3], s[4:5], v[2:3]
	v_add_nc_u64_e32 v[4:5], s[12:13], v[4:5]
	s_add_co_i32 s18, s18, -1
	s_delay_alu instid0(SALU_CYCLE_1)
	s_cmp_eq_u32 s18, 0
	s_wait_loadcnt_dscnt 0x0
	v_fmac_f64_e32 v[0:1], v[8:9], v[10:11]
	s_cbranch_scc0 .LBB23_3
	s_branch .LBB23_5
.LBB23_4:
	v_mov_b64_e32 v[0:1], 0
.LBB23_5:
	s_wait_kmcnt 0x0
	s_load_b64 s[4:5], s[16:17], 0x0
	s_load_b64 s[12:13], s[6:7], 0x0
                                        ; kill: killed $sgpr16_sgpr17
                                        ; kill: killed $sgpr6_sgpr7
	s_wait_xcnt 0x0
	s_load_b128 s[16:19], s[0:1], 0x80
	s_wait_kmcnt 0x0
	v_mul_lo_u32 v2, v6, s16
	s_mul_u64 s[0:1], s[18:19], s[2:3]
	s_lshl_b64 s[2:3], s[10:11], 3
	s_lshl_b64 s[0:1], s[0:1], 3
	s_delay_alu instid0(SALU_CYCLE_1) | instskip(NEXT) | instid1(SALU_CYCLE_1)
	s_add_nc_u64 s[0:1], s[8:9], s[0:1]
	s_add_nc_u64 s[0:1], s[0:1], s[2:3]
	s_delay_alu instid0(VALU_DEP_1) | instskip(SKIP_3) | instid1(VALU_DEP_1)
	v_mad_u32 v4, v7, s17, v2
	global_load_b64 v[2:3], v4, s[0:1] scale_offset
	s_wait_loadcnt 0x0
	v_mul_f64_e32 v[2:3], s[12:13], v[2:3]
	v_fmac_f64_e32 v[2:3], s[4:5], v[0:1]
	global_store_b64 v4, v[2:3], s[0:1] scale_offset
.LBB23_6:
	s_endpgm
	.section	.rodata,"a",@progbits
	.p2align	6, 0x0
	.amdhsa_kernel _ZN9rocsolver6v33100L11gemm_kernelIdiPKdPKPdS4_S4_EEvT0_S7_S7_T1_bT2_lS7_S7_lbT3_lS7_S7_lS8_T4_lS7_S7_l
		.amdhsa_group_segment_fixed_size 0
		.amdhsa_private_segment_fixed_size 0
		.amdhsa_kernarg_size 400
		.amdhsa_user_sgpr_count 2
		.amdhsa_user_sgpr_dispatch_ptr 0
		.amdhsa_user_sgpr_queue_ptr 0
		.amdhsa_user_sgpr_kernarg_segment_ptr 1
		.amdhsa_user_sgpr_dispatch_id 0
		.amdhsa_user_sgpr_kernarg_preload_length 0
		.amdhsa_user_sgpr_kernarg_preload_offset 0
		.amdhsa_user_sgpr_private_segment_size 0
		.amdhsa_wavefront_size32 1
		.amdhsa_uses_dynamic_stack 0
		.amdhsa_enable_private_segment 0
		.amdhsa_system_sgpr_workgroup_id_x 1
		.amdhsa_system_sgpr_workgroup_id_y 1
		.amdhsa_system_sgpr_workgroup_id_z 1
		.amdhsa_system_sgpr_workgroup_info 0
		.amdhsa_system_vgpr_workitem_id 1
		.amdhsa_next_free_vgpr 12
		.amdhsa_next_free_sgpr 28
		.amdhsa_named_barrier_count 0
		.amdhsa_reserve_vcc 1
		.amdhsa_float_round_mode_32 0
		.amdhsa_float_round_mode_16_64 0
		.amdhsa_float_denorm_mode_32 3
		.amdhsa_float_denorm_mode_16_64 3
		.amdhsa_fp16_overflow 0
		.amdhsa_memory_ordered 1
		.amdhsa_forward_progress 1
		.amdhsa_inst_pref_size 5
		.amdhsa_round_robin_scheduling 0
		.amdhsa_exception_fp_ieee_invalid_op 0
		.amdhsa_exception_fp_denorm_src 0
		.amdhsa_exception_fp_ieee_div_zero 0
		.amdhsa_exception_fp_ieee_overflow 0
		.amdhsa_exception_fp_ieee_underflow 0
		.amdhsa_exception_fp_ieee_inexact 0
		.amdhsa_exception_int_div_zero 0
	.end_amdhsa_kernel
	.section	.text._ZN9rocsolver6v33100L11gemm_kernelIdiPKdPKPdS4_S4_EEvT0_S7_S7_T1_bT2_lS7_S7_lbT3_lS7_S7_lS8_T4_lS7_S7_l,"axG",@progbits,_ZN9rocsolver6v33100L11gemm_kernelIdiPKdPKPdS4_S4_EEvT0_S7_S7_T1_bT2_lS7_S7_lbT3_lS7_S7_lS8_T4_lS7_S7_l,comdat
.Lfunc_end23:
	.size	_ZN9rocsolver6v33100L11gemm_kernelIdiPKdPKPdS4_S4_EEvT0_S7_S7_T1_bT2_lS7_S7_lbT3_lS7_S7_lS8_T4_lS7_S7_l, .Lfunc_end23-_ZN9rocsolver6v33100L11gemm_kernelIdiPKdPKPdS4_S4_EEvT0_S7_S7_T1_bT2_lS7_S7_lbT3_lS7_S7_lS8_T4_lS7_S7_l
                                        ; -- End function
	.set _ZN9rocsolver6v33100L11gemm_kernelIdiPKdPKPdS4_S4_EEvT0_S7_S7_T1_bT2_lS7_S7_lbT3_lS7_S7_lS8_T4_lS7_S7_l.num_vgpr, 12
	.set _ZN9rocsolver6v33100L11gemm_kernelIdiPKdPKPdS4_S4_EEvT0_S7_S7_T1_bT2_lS7_S7_lbT3_lS7_S7_lS8_T4_lS7_S7_l.num_agpr, 0
	.set _ZN9rocsolver6v33100L11gemm_kernelIdiPKdPKPdS4_S4_EEvT0_S7_S7_T1_bT2_lS7_S7_lbT3_lS7_S7_lS8_T4_lS7_S7_l.numbered_sgpr, 28
	.set _ZN9rocsolver6v33100L11gemm_kernelIdiPKdPKPdS4_S4_EEvT0_S7_S7_T1_bT2_lS7_S7_lbT3_lS7_S7_lS8_T4_lS7_S7_l.num_named_barrier, 0
	.set _ZN9rocsolver6v33100L11gemm_kernelIdiPKdPKPdS4_S4_EEvT0_S7_S7_T1_bT2_lS7_S7_lbT3_lS7_S7_lS8_T4_lS7_S7_l.private_seg_size, 0
	.set _ZN9rocsolver6v33100L11gemm_kernelIdiPKdPKPdS4_S4_EEvT0_S7_S7_T1_bT2_lS7_S7_lbT3_lS7_S7_lS8_T4_lS7_S7_l.uses_vcc, 1
	.set _ZN9rocsolver6v33100L11gemm_kernelIdiPKdPKPdS4_S4_EEvT0_S7_S7_T1_bT2_lS7_S7_lbT3_lS7_S7_lS8_T4_lS7_S7_l.uses_flat_scratch, 0
	.set _ZN9rocsolver6v33100L11gemm_kernelIdiPKdPKPdS4_S4_EEvT0_S7_S7_T1_bT2_lS7_S7_lbT3_lS7_S7_lS8_T4_lS7_S7_l.has_dyn_sized_stack, 0
	.set _ZN9rocsolver6v33100L11gemm_kernelIdiPKdPKPdS4_S4_EEvT0_S7_S7_T1_bT2_lS7_S7_lbT3_lS7_S7_lS8_T4_lS7_S7_l.has_recursion, 0
	.set _ZN9rocsolver6v33100L11gemm_kernelIdiPKdPKPdS4_S4_EEvT0_S7_S7_T1_bT2_lS7_S7_lbT3_lS7_S7_lS8_T4_lS7_S7_l.has_indirect_call, 0
	.section	.AMDGPU.csdata,"",@progbits
; Kernel info:
; codeLenInByte = 596
; TotalNumSgprs: 30
; NumVgprs: 12
; ScratchSize: 0
; MemoryBound: 0
; FloatMode: 240
; IeeeMode: 1
; LDSByteSize: 0 bytes/workgroup (compile time only)
; SGPRBlocks: 0
; VGPRBlocks: 0
; NumSGPRsForWavesPerEU: 30
; NumVGPRsForWavesPerEU: 12
; NamedBarCnt: 0
; Occupancy: 16
; WaveLimiterHint : 1
; COMPUTE_PGM_RSRC2:SCRATCH_EN: 0
; COMPUTE_PGM_RSRC2:USER_SGPR: 2
; COMPUTE_PGM_RSRC2:TRAP_HANDLER: 0
; COMPUTE_PGM_RSRC2:TGID_X_EN: 1
; COMPUTE_PGM_RSRC2:TGID_Y_EN: 1
; COMPUTE_PGM_RSRC2:TGID_Z_EN: 1
; COMPUTE_PGM_RSRC2:TIDIG_COMP_CNT: 1
	.section	.text._ZN9rocsolver6v33100L11gemm_kernelIdidPKPdS2_S2_EEvT0_S5_S5_T1_bT2_lS5_S5_lbT3_lS5_S5_lS6_T4_lS5_S5_l,"axG",@progbits,_ZN9rocsolver6v33100L11gemm_kernelIdidPKPdS2_S2_EEvT0_S5_S5_T1_bT2_lS5_S5_lbT3_lS5_S5_lS6_T4_lS5_S5_l,comdat
	.globl	_ZN9rocsolver6v33100L11gemm_kernelIdidPKPdS2_S2_EEvT0_S5_S5_T1_bT2_lS5_S5_lbT3_lS5_S5_lS6_T4_lS5_S5_l ; -- Begin function _ZN9rocsolver6v33100L11gemm_kernelIdidPKPdS2_S2_EEvT0_S5_S5_T1_bT2_lS5_S5_lbT3_lS5_S5_lS6_T4_lS5_S5_l
	.p2align	8
	.type	_ZN9rocsolver6v33100L11gemm_kernelIdidPKPdS2_S2_EEvT0_S5_S5_T1_bT2_lS5_S5_lbT3_lS5_S5_lS6_T4_lS5_S5_l,@function
_ZN9rocsolver6v33100L11gemm_kernelIdidPKPdS2_S2_EEvT0_S5_S5_T1_bT2_lS5_S5_lbT3_lS5_S5_lS6_T4_lS5_S5_l: ; @_ZN9rocsolver6v33100L11gemm_kernelIdidPKPdS2_S2_EEvT0_S5_S5_T1_bT2_lS5_S5_lbT3_lS5_S5_lS6_T4_lS5_S5_l
; %bb.0:
	s_clause 0x1
	s_load_b32 s2, s[0:1], 0x9c
	s_load_b96 s[16:18], s[0:1], 0x0
	s_bfe_u32 s4, ttmp6, 0x4000c
	s_bfe_u32 s6, ttmp6, 0x40010
	s_and_b32 s5, ttmp7, 0xffff
	s_add_co_i32 s4, s4, 1
	s_add_co_i32 s6, s6, 1
	s_and_b32 s3, ttmp6, 15
	s_bfe_u32 s7, ttmp6, 0x40004
	s_mul_i32 s4, ttmp9, s4
	s_mul_i32 s6, s5, s6
	s_getreg_b32 s12, hwreg(HW_REG_IB_STS2, 6, 4)
	v_bfe_u32 v1, v0, 10, 10
	v_and_b32_e32 v0, 0x3ff, v0
	s_add_co_i32 s3, s3, s4
	s_add_co_i32 s7, s7, s6
	s_wait_kmcnt 0x0
	s_and_b32 s4, s2, 0xffff
	s_lshr_b32 s2, s2, 16
	s_cmp_eq_u32 s12, 0
	s_cselect_b32 s3, ttmp9, s3
	s_cselect_b32 s5, s5, s7
	v_mad_u32 v6, s3, s4, v0
	v_mad_u32 v7, s5, s2, v1
	s_mov_b32 s3, 0
	s_delay_alu instid0(VALU_DEP_2) | instskip(NEXT) | instid1(VALU_DEP_2)
	v_cmp_gt_i32_e32 vcc_lo, s16, v6
	v_cmp_gt_i32_e64 s2, s17, v7
	s_and_b32 s2, vcc_lo, s2
	s_delay_alu instid0(SALU_CYCLE_1)
	s_and_saveexec_b32 s4, s2
	s_cbranch_execz .LBB24_6
; %bb.1:
	s_load_b256 s[4:11], s[0:1], 0x60
	s_bfe_u32 s2, ttmp6, 0x40014
	s_lshr_b32 s13, ttmp7, 16
	s_add_co_i32 s2, s2, 1
	s_bfe_u32 s14, ttmp6, 0x40008
	s_mul_i32 s2, s13, s2
	s_delay_alu instid0(SALU_CYCLE_1)
	s_add_co_i32 s14, s14, s2
	s_cmp_eq_u32 s12, 0
	s_cselect_b32 s2, s13, s14
	s_cmp_lt_i32 s18, 1
	s_cbranch_scc1 .LBB24_4
; %bb.2:
	s_clause 0x3
	s_load_b128 s[12:15], s[0:1], 0x20
	s_load_b64 s[16:17], s[0:1], 0x58
	s_load_b64 s[24:25], s[0:1], 0x30
	s_load_b128 s[20:23], s[0:1], 0x48
	s_wait_kmcnt 0x0
	s_mul_u64 s[4:5], s[4:5], s[2:3]
	v_mov_b64_e32 v[0:1], 0
	s_lshl_b64 s[4:5], s[4:5], 3
	s_load_b64 s[12:13], s[12:13], s2 offset:0x0 scale_offset
	v_mul_lo_u32 v2, v7, s17
	v_mul_lo_u32 v4, v6, s24
	s_lshl_b64 s[22:23], s[22:23], 3
	s_lshl_b64 s[14:15], s[14:15], 3
	s_add_nc_u64 s[4:5], s[4:5], s[22:23]
	s_ashr_i32 s17, s16, 31
	s_add_nc_u64 s[4:5], s[20:21], s[4:5]
	s_delay_alu instid0(VALU_DEP_1) | instskip(NEXT) | instid1(VALU_DEP_1)
	v_dual_ashrrev_i32 v3, 31, v2 :: v_dual_ashrrev_i32 v5, 31, v4
	v_lshl_add_u64 v[2:3], v[2:3], 3, s[4:5]
	s_lshl_b64 s[4:5], s[16:17], 3
	s_wait_kmcnt 0x0
	s_add_nc_u64 s[12:13], s[12:13], s[14:15]
	s_delay_alu instid0(SALU_CYCLE_1) | instskip(SKIP_2) | instid1(SALU_CYCLE_1)
	v_lshl_add_u64 v[4:5], v[4:5], 3, s[12:13]
	s_ashr_i32 s13, s25, 31
	s_mov_b32 s12, s25
	s_lshl_b64 s[12:13], s[12:13], 3
.LBB24_3:                               ; =>This Inner Loop Header: Depth=1
	flat_load_b64 v[8:9], v[4:5]
	global_load_b64 v[10:11], v[2:3], off
	s_wait_xcnt 0x0
	v_add_nc_u64_e32 v[2:3], s[4:5], v[2:3]
	v_add_nc_u64_e32 v[4:5], s[12:13], v[4:5]
	s_add_co_i32 s18, s18, -1
	s_delay_alu instid0(SALU_CYCLE_1)
	s_cmp_eq_u32 s18, 0
	s_wait_loadcnt_dscnt 0x0
	v_fmac_f64_e32 v[0:1], v[8:9], v[10:11]
	s_cbranch_scc0 .LBB24_3
	s_branch .LBB24_5
.LBB24_4:
	v_mov_b64_e32 v[0:1], 0
.LBB24_5:
	s_load_b128 s[12:15], s[0:1], 0x80
	s_wait_kmcnt 0x0
	s_lshl_b64 s[4:5], s[10:11], 3
	s_load_b64 s[0:1], s[0:1], 0x10
	v_mul_lo_u32 v2, v6, s12
	s_mul_u64 s[2:3], s[14:15], s[2:3]
	s_delay_alu instid0(SALU_CYCLE_1) | instskip(NEXT) | instid1(SALU_CYCLE_1)
	s_lshl_b64 s[2:3], s[2:3], 3
	s_add_nc_u64 s[2:3], s[8:9], s[2:3]
	s_delay_alu instid0(SALU_CYCLE_1) | instskip(NEXT) | instid1(VALU_DEP_1)
	s_add_nc_u64 s[2:3], s[2:3], s[4:5]
	v_mad_u32 v4, v7, s13, v2
	global_load_b64 v[2:3], v4, s[2:3] scale_offset
	s_wait_loadcnt 0x0
	v_mul_f64_e32 v[2:3], s[6:7], v[2:3]
	s_wait_kmcnt 0x0
	s_delay_alu instid0(VALU_DEP_1)
	v_fmac_f64_e32 v[2:3], s[0:1], v[0:1]
	global_store_b64 v4, v[2:3], s[2:3] scale_offset
.LBB24_6:
	s_endpgm
	.section	.rodata,"a",@progbits
	.p2align	6, 0x0
	.amdhsa_kernel _ZN9rocsolver6v33100L11gemm_kernelIdidPKPdS2_S2_EEvT0_S5_S5_T1_bT2_lS5_S5_lbT3_lS5_S5_lS6_T4_lS5_S5_l
		.amdhsa_group_segment_fixed_size 0
		.amdhsa_private_segment_fixed_size 0
		.amdhsa_kernarg_size 400
		.amdhsa_user_sgpr_count 2
		.amdhsa_user_sgpr_dispatch_ptr 0
		.amdhsa_user_sgpr_queue_ptr 0
		.amdhsa_user_sgpr_kernarg_segment_ptr 1
		.amdhsa_user_sgpr_dispatch_id 0
		.amdhsa_user_sgpr_kernarg_preload_length 0
		.amdhsa_user_sgpr_kernarg_preload_offset 0
		.amdhsa_user_sgpr_private_segment_size 0
		.amdhsa_wavefront_size32 1
		.amdhsa_uses_dynamic_stack 0
		.amdhsa_enable_private_segment 0
		.amdhsa_system_sgpr_workgroup_id_x 1
		.amdhsa_system_sgpr_workgroup_id_y 1
		.amdhsa_system_sgpr_workgroup_id_z 1
		.amdhsa_system_sgpr_workgroup_info 0
		.amdhsa_system_vgpr_workitem_id 1
		.amdhsa_next_free_vgpr 12
		.amdhsa_next_free_sgpr 26
		.amdhsa_named_barrier_count 0
		.amdhsa_reserve_vcc 1
		.amdhsa_float_round_mode_32 0
		.amdhsa_float_round_mode_16_64 0
		.amdhsa_float_denorm_mode_32 3
		.amdhsa_float_denorm_mode_16_64 3
		.amdhsa_fp16_overflow 0
		.amdhsa_memory_ordered 1
		.amdhsa_forward_progress 1
		.amdhsa_inst_pref_size 5
		.amdhsa_round_robin_scheduling 0
		.amdhsa_exception_fp_ieee_invalid_op 0
		.amdhsa_exception_fp_denorm_src 0
		.amdhsa_exception_fp_ieee_div_zero 0
		.amdhsa_exception_fp_ieee_overflow 0
		.amdhsa_exception_fp_ieee_underflow 0
		.amdhsa_exception_fp_ieee_inexact 0
		.amdhsa_exception_int_div_zero 0
	.end_amdhsa_kernel
	.section	.text._ZN9rocsolver6v33100L11gemm_kernelIdidPKPdS2_S2_EEvT0_S5_S5_T1_bT2_lS5_S5_lbT3_lS5_S5_lS6_T4_lS5_S5_l,"axG",@progbits,_ZN9rocsolver6v33100L11gemm_kernelIdidPKPdS2_S2_EEvT0_S5_S5_T1_bT2_lS5_S5_lbT3_lS5_S5_lS6_T4_lS5_S5_l,comdat
.Lfunc_end24:
	.size	_ZN9rocsolver6v33100L11gemm_kernelIdidPKPdS2_S2_EEvT0_S5_S5_T1_bT2_lS5_S5_lbT3_lS5_S5_lS6_T4_lS5_S5_l, .Lfunc_end24-_ZN9rocsolver6v33100L11gemm_kernelIdidPKPdS2_S2_EEvT0_S5_S5_T1_bT2_lS5_S5_lbT3_lS5_S5_lS6_T4_lS5_S5_l
                                        ; -- End function
	.set _ZN9rocsolver6v33100L11gemm_kernelIdidPKPdS2_S2_EEvT0_S5_S5_T1_bT2_lS5_S5_lbT3_lS5_S5_lS6_T4_lS5_S5_l.num_vgpr, 12
	.set _ZN9rocsolver6v33100L11gemm_kernelIdidPKPdS2_S2_EEvT0_S5_S5_T1_bT2_lS5_S5_lbT3_lS5_S5_lS6_T4_lS5_S5_l.num_agpr, 0
	.set _ZN9rocsolver6v33100L11gemm_kernelIdidPKPdS2_S2_EEvT0_S5_S5_T1_bT2_lS5_S5_lbT3_lS5_S5_lS6_T4_lS5_S5_l.numbered_sgpr, 26
	.set _ZN9rocsolver6v33100L11gemm_kernelIdidPKPdS2_S2_EEvT0_S5_S5_T1_bT2_lS5_S5_lbT3_lS5_S5_lS6_T4_lS5_S5_l.num_named_barrier, 0
	.set _ZN9rocsolver6v33100L11gemm_kernelIdidPKPdS2_S2_EEvT0_S5_S5_T1_bT2_lS5_S5_lbT3_lS5_S5_lS6_T4_lS5_S5_l.private_seg_size, 0
	.set _ZN9rocsolver6v33100L11gemm_kernelIdidPKPdS2_S2_EEvT0_S5_S5_T1_bT2_lS5_S5_lbT3_lS5_S5_lS6_T4_lS5_S5_l.uses_vcc, 1
	.set _ZN9rocsolver6v33100L11gemm_kernelIdidPKPdS2_S2_EEvT0_S5_S5_T1_bT2_lS5_S5_lbT3_lS5_S5_lS6_T4_lS5_S5_l.uses_flat_scratch, 0
	.set _ZN9rocsolver6v33100L11gemm_kernelIdidPKPdS2_S2_EEvT0_S5_S5_T1_bT2_lS5_S5_lbT3_lS5_S5_lS6_T4_lS5_S5_l.has_dyn_sized_stack, 0
	.set _ZN9rocsolver6v33100L11gemm_kernelIdidPKPdS2_S2_EEvT0_S5_S5_T1_bT2_lS5_S5_lbT3_lS5_S5_lS6_T4_lS5_S5_l.has_recursion, 0
	.set _ZN9rocsolver6v33100L11gemm_kernelIdidPKPdS2_S2_EEvT0_S5_S5_T1_bT2_lS5_S5_lbT3_lS5_S5_lS6_T4_lS5_S5_l.has_indirect_call, 0
	.section	.AMDGPU.csdata,"",@progbits
; Kernel info:
; codeLenInByte = 576
; TotalNumSgprs: 28
; NumVgprs: 12
; ScratchSize: 0
; MemoryBound: 0
; FloatMode: 240
; IeeeMode: 1
; LDSByteSize: 0 bytes/workgroup (compile time only)
; SGPRBlocks: 0
; VGPRBlocks: 0
; NumSGPRsForWavesPerEU: 28
; NumVGPRsForWavesPerEU: 12
; NamedBarCnt: 0
; Occupancy: 16
; WaveLimiterHint : 1
; COMPUTE_PGM_RSRC2:SCRATCH_EN: 0
; COMPUTE_PGM_RSRC2:USER_SGPR: 2
; COMPUTE_PGM_RSRC2:TRAP_HANDLER: 0
; COMPUTE_PGM_RSRC2:TGID_X_EN: 1
; COMPUTE_PGM_RSRC2:TGID_Y_EN: 1
; COMPUTE_PGM_RSRC2:TGID_Z_EN: 1
; COMPUTE_PGM_RSRC2:TIDIG_COMP_CNT: 1
	.section	.text._ZN9rocsolver6v33100L16mfma_gemm_kernelIdiPKdPdPKS4_S4_EEv18rocblas_operation_S7_T0_S8_S8_T1_T2_lS8_S8_lT3_lS8_S8_lS9_T4_lS8_S8_l,"axG",@progbits,_ZN9rocsolver6v33100L16mfma_gemm_kernelIdiPKdPdPKS4_S4_EEv18rocblas_operation_S7_T0_S8_S8_T1_T2_lS8_S8_lT3_lS8_S8_lS9_T4_lS8_S8_l,comdat
	.globl	_ZN9rocsolver6v33100L16mfma_gemm_kernelIdiPKdPdPKS4_S4_EEv18rocblas_operation_S7_T0_S8_S8_T1_T2_lS8_S8_lT3_lS8_S8_lS9_T4_lS8_S8_l ; -- Begin function _ZN9rocsolver6v33100L16mfma_gemm_kernelIdiPKdPdPKS4_S4_EEv18rocblas_operation_S7_T0_S8_S8_T1_T2_lS8_S8_lT3_lS8_S8_lS9_T4_lS8_S8_l
	.p2align	8
	.type	_ZN9rocsolver6v33100L16mfma_gemm_kernelIdiPKdPdPKS4_S4_EEv18rocblas_operation_S7_T0_S8_S8_T1_T2_lS8_S8_lT3_lS8_S8_lS9_T4_lS8_S8_l,@function
_ZN9rocsolver6v33100L16mfma_gemm_kernelIdiPKdPdPKS4_S4_EEv18rocblas_operation_S7_T0_S8_S8_T1_T2_lS8_S8_lT3_lS8_S8_lS9_T4_lS8_S8_l: ; @_ZN9rocsolver6v33100L16mfma_gemm_kernelIdiPKdPdPKS4_S4_EEv18rocblas_operation_S7_T0_S8_S8_T1_T2_lS8_S8_lT3_lS8_S8_lS9_T4_lS8_S8_l
; %bb.0:
	s_endpgm
	.section	.rodata,"a",@progbits
	.p2align	6, 0x0
	.amdhsa_kernel _ZN9rocsolver6v33100L16mfma_gemm_kernelIdiPKdPdPKS4_S4_EEv18rocblas_operation_S7_T0_S8_S8_T1_T2_lS8_S8_lT3_lS8_S8_lS9_T4_lS8_S8_l
		.amdhsa_group_segment_fixed_size 0
		.amdhsa_private_segment_fixed_size 0
		.amdhsa_kernarg_size 136
		.amdhsa_user_sgpr_count 2
		.amdhsa_user_sgpr_dispatch_ptr 0
		.amdhsa_user_sgpr_queue_ptr 0
		.amdhsa_user_sgpr_kernarg_segment_ptr 1
		.amdhsa_user_sgpr_dispatch_id 0
		.amdhsa_user_sgpr_kernarg_preload_length 0
		.amdhsa_user_sgpr_kernarg_preload_offset 0
		.amdhsa_user_sgpr_private_segment_size 0
		.amdhsa_wavefront_size32 1
		.amdhsa_uses_dynamic_stack 0
		.amdhsa_enable_private_segment 0
		.amdhsa_system_sgpr_workgroup_id_x 1
		.amdhsa_system_sgpr_workgroup_id_y 0
		.amdhsa_system_sgpr_workgroup_id_z 0
		.amdhsa_system_sgpr_workgroup_info 0
		.amdhsa_system_vgpr_workitem_id 0
		.amdhsa_next_free_vgpr 1
		.amdhsa_next_free_sgpr 1
		.amdhsa_named_barrier_count 0
		.amdhsa_reserve_vcc 0
		.amdhsa_float_round_mode_32 0
		.amdhsa_float_round_mode_16_64 0
		.amdhsa_float_denorm_mode_32 3
		.amdhsa_float_denorm_mode_16_64 3
		.amdhsa_fp16_overflow 0
		.amdhsa_memory_ordered 1
		.amdhsa_forward_progress 1
		.amdhsa_inst_pref_size 1
		.amdhsa_round_robin_scheduling 0
		.amdhsa_exception_fp_ieee_invalid_op 0
		.amdhsa_exception_fp_denorm_src 0
		.amdhsa_exception_fp_ieee_div_zero 0
		.amdhsa_exception_fp_ieee_overflow 0
		.amdhsa_exception_fp_ieee_underflow 0
		.amdhsa_exception_fp_ieee_inexact 0
		.amdhsa_exception_int_div_zero 0
	.end_amdhsa_kernel
	.section	.text._ZN9rocsolver6v33100L16mfma_gemm_kernelIdiPKdPdPKS4_S4_EEv18rocblas_operation_S7_T0_S8_S8_T1_T2_lS8_S8_lT3_lS8_S8_lS9_T4_lS8_S8_l,"axG",@progbits,_ZN9rocsolver6v33100L16mfma_gemm_kernelIdiPKdPdPKS4_S4_EEv18rocblas_operation_S7_T0_S8_S8_T1_T2_lS8_S8_lT3_lS8_S8_lS9_T4_lS8_S8_l,comdat
.Lfunc_end25:
	.size	_ZN9rocsolver6v33100L16mfma_gemm_kernelIdiPKdPdPKS4_S4_EEv18rocblas_operation_S7_T0_S8_S8_T1_T2_lS8_S8_lT3_lS8_S8_lS9_T4_lS8_S8_l, .Lfunc_end25-_ZN9rocsolver6v33100L16mfma_gemm_kernelIdiPKdPdPKS4_S4_EEv18rocblas_operation_S7_T0_S8_S8_T1_T2_lS8_S8_lT3_lS8_S8_lS9_T4_lS8_S8_l
                                        ; -- End function
	.set _ZN9rocsolver6v33100L16mfma_gemm_kernelIdiPKdPdPKS4_S4_EEv18rocblas_operation_S7_T0_S8_S8_T1_T2_lS8_S8_lT3_lS8_S8_lS9_T4_lS8_S8_l.num_vgpr, 0
	.set _ZN9rocsolver6v33100L16mfma_gemm_kernelIdiPKdPdPKS4_S4_EEv18rocblas_operation_S7_T0_S8_S8_T1_T2_lS8_S8_lT3_lS8_S8_lS9_T4_lS8_S8_l.num_agpr, 0
	.set _ZN9rocsolver6v33100L16mfma_gemm_kernelIdiPKdPdPKS4_S4_EEv18rocblas_operation_S7_T0_S8_S8_T1_T2_lS8_S8_lT3_lS8_S8_lS9_T4_lS8_S8_l.numbered_sgpr, 0
	.set _ZN9rocsolver6v33100L16mfma_gemm_kernelIdiPKdPdPKS4_S4_EEv18rocblas_operation_S7_T0_S8_S8_T1_T2_lS8_S8_lT3_lS8_S8_lS9_T4_lS8_S8_l.num_named_barrier, 0
	.set _ZN9rocsolver6v33100L16mfma_gemm_kernelIdiPKdPdPKS4_S4_EEv18rocblas_operation_S7_T0_S8_S8_T1_T2_lS8_S8_lT3_lS8_S8_lS9_T4_lS8_S8_l.private_seg_size, 0
	.set _ZN9rocsolver6v33100L16mfma_gemm_kernelIdiPKdPdPKS4_S4_EEv18rocblas_operation_S7_T0_S8_S8_T1_T2_lS8_S8_lT3_lS8_S8_lS9_T4_lS8_S8_l.uses_vcc, 0
	.set _ZN9rocsolver6v33100L16mfma_gemm_kernelIdiPKdPdPKS4_S4_EEv18rocblas_operation_S7_T0_S8_S8_T1_T2_lS8_S8_lT3_lS8_S8_lS9_T4_lS8_S8_l.uses_flat_scratch, 0
	.set _ZN9rocsolver6v33100L16mfma_gemm_kernelIdiPKdPdPKS4_S4_EEv18rocblas_operation_S7_T0_S8_S8_T1_T2_lS8_S8_lT3_lS8_S8_lS9_T4_lS8_S8_l.has_dyn_sized_stack, 0
	.set _ZN9rocsolver6v33100L16mfma_gemm_kernelIdiPKdPdPKS4_S4_EEv18rocblas_operation_S7_T0_S8_S8_T1_T2_lS8_S8_lT3_lS8_S8_lS9_T4_lS8_S8_l.has_recursion, 0
	.set _ZN9rocsolver6v33100L16mfma_gemm_kernelIdiPKdPdPKS4_S4_EEv18rocblas_operation_S7_T0_S8_S8_T1_T2_lS8_S8_lT3_lS8_S8_lS9_T4_lS8_S8_l.has_indirect_call, 0
	.section	.AMDGPU.csdata,"",@progbits
; Kernel info:
; codeLenInByte = 4
; TotalNumSgprs: 0
; NumVgprs: 0
; ScratchSize: 0
; MemoryBound: 0
; FloatMode: 240
; IeeeMode: 1
; LDSByteSize: 0 bytes/workgroup (compile time only)
; SGPRBlocks: 0
; VGPRBlocks: 0
; NumSGPRsForWavesPerEU: 1
; NumVGPRsForWavesPerEU: 1
; NamedBarCnt: 0
; Occupancy: 16
; WaveLimiterHint : 0
; COMPUTE_PGM_RSRC2:SCRATCH_EN: 0
; COMPUTE_PGM_RSRC2:USER_SGPR: 2
; COMPUTE_PGM_RSRC2:TRAP_HANDLER: 0
; COMPUTE_PGM_RSRC2:TGID_X_EN: 1
; COMPUTE_PGM_RSRC2:TGID_Y_EN: 0
; COMPUTE_PGM_RSRC2:TGID_Z_EN: 0
; COMPUTE_PGM_RSRC2:TIDIG_COMP_CNT: 0
	.section	.text._ZN9rocsolver6v33100L16mfma_gemm_kernelIdidPdPKS2_S2_EEv18rocblas_operation_S5_T0_S6_S6_T1_T2_lS6_S6_lT3_lS6_S6_lS7_T4_lS6_S6_l,"axG",@progbits,_ZN9rocsolver6v33100L16mfma_gemm_kernelIdidPdPKS2_S2_EEv18rocblas_operation_S5_T0_S6_S6_T1_T2_lS6_S6_lT3_lS6_S6_lS7_T4_lS6_S6_l,comdat
	.globl	_ZN9rocsolver6v33100L16mfma_gemm_kernelIdidPdPKS2_S2_EEv18rocblas_operation_S5_T0_S6_S6_T1_T2_lS6_S6_lT3_lS6_S6_lS7_T4_lS6_S6_l ; -- Begin function _ZN9rocsolver6v33100L16mfma_gemm_kernelIdidPdPKS2_S2_EEv18rocblas_operation_S5_T0_S6_S6_T1_T2_lS6_S6_lT3_lS6_S6_lS7_T4_lS6_S6_l
	.p2align	8
	.type	_ZN9rocsolver6v33100L16mfma_gemm_kernelIdidPdPKS2_S2_EEv18rocblas_operation_S5_T0_S6_S6_T1_T2_lS6_S6_lT3_lS6_S6_lS7_T4_lS6_S6_l,@function
_ZN9rocsolver6v33100L16mfma_gemm_kernelIdidPdPKS2_S2_EEv18rocblas_operation_S5_T0_S6_S6_T1_T2_lS6_S6_lT3_lS6_S6_lS7_T4_lS6_S6_l: ; @_ZN9rocsolver6v33100L16mfma_gemm_kernelIdidPdPKS2_S2_EEv18rocblas_operation_S5_T0_S6_S6_T1_T2_lS6_S6_lT3_lS6_S6_lS7_T4_lS6_S6_l
; %bb.0:
	s_endpgm
	.section	.rodata,"a",@progbits
	.p2align	6, 0x0
	.amdhsa_kernel _ZN9rocsolver6v33100L16mfma_gemm_kernelIdidPdPKS2_S2_EEv18rocblas_operation_S5_T0_S6_S6_T1_T2_lS6_S6_lT3_lS6_S6_lS7_T4_lS6_S6_l
		.amdhsa_group_segment_fixed_size 0
		.amdhsa_private_segment_fixed_size 0
		.amdhsa_kernarg_size 136
		.amdhsa_user_sgpr_count 2
		.amdhsa_user_sgpr_dispatch_ptr 0
		.amdhsa_user_sgpr_queue_ptr 0
		.amdhsa_user_sgpr_kernarg_segment_ptr 1
		.amdhsa_user_sgpr_dispatch_id 0
		.amdhsa_user_sgpr_kernarg_preload_length 0
		.amdhsa_user_sgpr_kernarg_preload_offset 0
		.amdhsa_user_sgpr_private_segment_size 0
		.amdhsa_wavefront_size32 1
		.amdhsa_uses_dynamic_stack 0
		.amdhsa_enable_private_segment 0
		.amdhsa_system_sgpr_workgroup_id_x 1
		.amdhsa_system_sgpr_workgroup_id_y 0
		.amdhsa_system_sgpr_workgroup_id_z 0
		.amdhsa_system_sgpr_workgroup_info 0
		.amdhsa_system_vgpr_workitem_id 0
		.amdhsa_next_free_vgpr 1
		.amdhsa_next_free_sgpr 1
		.amdhsa_named_barrier_count 0
		.amdhsa_reserve_vcc 0
		.amdhsa_float_round_mode_32 0
		.amdhsa_float_round_mode_16_64 0
		.amdhsa_float_denorm_mode_32 3
		.amdhsa_float_denorm_mode_16_64 3
		.amdhsa_fp16_overflow 0
		.amdhsa_memory_ordered 1
		.amdhsa_forward_progress 1
		.amdhsa_inst_pref_size 1
		.amdhsa_round_robin_scheduling 0
		.amdhsa_exception_fp_ieee_invalid_op 0
		.amdhsa_exception_fp_denorm_src 0
		.amdhsa_exception_fp_ieee_div_zero 0
		.amdhsa_exception_fp_ieee_overflow 0
		.amdhsa_exception_fp_ieee_underflow 0
		.amdhsa_exception_fp_ieee_inexact 0
		.amdhsa_exception_int_div_zero 0
	.end_amdhsa_kernel
	.section	.text._ZN9rocsolver6v33100L16mfma_gemm_kernelIdidPdPKS2_S2_EEv18rocblas_operation_S5_T0_S6_S6_T1_T2_lS6_S6_lT3_lS6_S6_lS7_T4_lS6_S6_l,"axG",@progbits,_ZN9rocsolver6v33100L16mfma_gemm_kernelIdidPdPKS2_S2_EEv18rocblas_operation_S5_T0_S6_S6_T1_T2_lS6_S6_lT3_lS6_S6_lS7_T4_lS6_S6_l,comdat
.Lfunc_end26:
	.size	_ZN9rocsolver6v33100L16mfma_gemm_kernelIdidPdPKS2_S2_EEv18rocblas_operation_S5_T0_S6_S6_T1_T2_lS6_S6_lT3_lS6_S6_lS7_T4_lS6_S6_l, .Lfunc_end26-_ZN9rocsolver6v33100L16mfma_gemm_kernelIdidPdPKS2_S2_EEv18rocblas_operation_S5_T0_S6_S6_T1_T2_lS6_S6_lT3_lS6_S6_lS7_T4_lS6_S6_l
                                        ; -- End function
	.set _ZN9rocsolver6v33100L16mfma_gemm_kernelIdidPdPKS2_S2_EEv18rocblas_operation_S5_T0_S6_S6_T1_T2_lS6_S6_lT3_lS6_S6_lS7_T4_lS6_S6_l.num_vgpr, 0
	.set _ZN9rocsolver6v33100L16mfma_gemm_kernelIdidPdPKS2_S2_EEv18rocblas_operation_S5_T0_S6_S6_T1_T2_lS6_S6_lT3_lS6_S6_lS7_T4_lS6_S6_l.num_agpr, 0
	.set _ZN9rocsolver6v33100L16mfma_gemm_kernelIdidPdPKS2_S2_EEv18rocblas_operation_S5_T0_S6_S6_T1_T2_lS6_S6_lT3_lS6_S6_lS7_T4_lS6_S6_l.numbered_sgpr, 0
	.set _ZN9rocsolver6v33100L16mfma_gemm_kernelIdidPdPKS2_S2_EEv18rocblas_operation_S5_T0_S6_S6_T1_T2_lS6_S6_lT3_lS6_S6_lS7_T4_lS6_S6_l.num_named_barrier, 0
	.set _ZN9rocsolver6v33100L16mfma_gemm_kernelIdidPdPKS2_S2_EEv18rocblas_operation_S5_T0_S6_S6_T1_T2_lS6_S6_lT3_lS6_S6_lS7_T4_lS6_S6_l.private_seg_size, 0
	.set _ZN9rocsolver6v33100L16mfma_gemm_kernelIdidPdPKS2_S2_EEv18rocblas_operation_S5_T0_S6_S6_T1_T2_lS6_S6_lT3_lS6_S6_lS7_T4_lS6_S6_l.uses_vcc, 0
	.set _ZN9rocsolver6v33100L16mfma_gemm_kernelIdidPdPKS2_S2_EEv18rocblas_operation_S5_T0_S6_S6_T1_T2_lS6_S6_lT3_lS6_S6_lS7_T4_lS6_S6_l.uses_flat_scratch, 0
	.set _ZN9rocsolver6v33100L16mfma_gemm_kernelIdidPdPKS2_S2_EEv18rocblas_operation_S5_T0_S6_S6_T1_T2_lS6_S6_lT3_lS6_S6_lS7_T4_lS6_S6_l.has_dyn_sized_stack, 0
	.set _ZN9rocsolver6v33100L16mfma_gemm_kernelIdidPdPKS2_S2_EEv18rocblas_operation_S5_T0_S6_S6_T1_T2_lS6_S6_lT3_lS6_S6_lS7_T4_lS6_S6_l.has_recursion, 0
	.set _ZN9rocsolver6v33100L16mfma_gemm_kernelIdidPdPKS2_S2_EEv18rocblas_operation_S5_T0_S6_S6_T1_T2_lS6_S6_lT3_lS6_S6_lS7_T4_lS6_S6_l.has_indirect_call, 0
	.section	.AMDGPU.csdata,"",@progbits
; Kernel info:
; codeLenInByte = 4
; TotalNumSgprs: 0
; NumVgprs: 0
; ScratchSize: 0
; MemoryBound: 0
; FloatMode: 240
; IeeeMode: 1
; LDSByteSize: 0 bytes/workgroup (compile time only)
; SGPRBlocks: 0
; VGPRBlocks: 0
; NumSGPRsForWavesPerEU: 1
; NumVGPRsForWavesPerEU: 1
; NamedBarCnt: 0
; Occupancy: 16
; WaveLimiterHint : 0
; COMPUTE_PGM_RSRC2:SCRATCH_EN: 0
; COMPUTE_PGM_RSRC2:USER_SGPR: 2
; COMPUTE_PGM_RSRC2:TRAP_HANDLER: 0
; COMPUTE_PGM_RSRC2:TGID_X_EN: 1
; COMPUTE_PGM_RSRC2:TGID_Y_EN: 0
; COMPUTE_PGM_RSRC2:TGID_Z_EN: 0
; COMPUTE_PGM_RSRC2:TIDIG_COMP_CNT: 0
	.section	.text._ZN9rocsolver6v33100L11gemm_kernelIdiPKdPdPKS4_S4_EEvT0_S7_S7_T1_bT2_lS7_S7_lbT3_lS7_S7_lS8_T4_lS7_S7_l,"axG",@progbits,_ZN9rocsolver6v33100L11gemm_kernelIdiPKdPdPKS4_S4_EEvT0_S7_S7_T1_bT2_lS7_S7_lbT3_lS7_S7_lS8_T4_lS7_S7_l,comdat
	.globl	_ZN9rocsolver6v33100L11gemm_kernelIdiPKdPdPKS4_S4_EEvT0_S7_S7_T1_bT2_lS7_S7_lbT3_lS7_S7_lS8_T4_lS7_S7_l ; -- Begin function _ZN9rocsolver6v33100L11gemm_kernelIdiPKdPdPKS4_S4_EEvT0_S7_S7_T1_bT2_lS7_S7_lbT3_lS7_S7_lS8_T4_lS7_S7_l
	.p2align	8
	.type	_ZN9rocsolver6v33100L11gemm_kernelIdiPKdPdPKS4_S4_EEvT0_S7_S7_T1_bT2_lS7_S7_lbT3_lS7_S7_lS8_T4_lS7_S7_l,@function
_ZN9rocsolver6v33100L11gemm_kernelIdiPKdPdPKS4_S4_EEvT0_S7_S7_T1_bT2_lS7_S7_lbT3_lS7_S7_lS8_T4_lS7_S7_l: ; @_ZN9rocsolver6v33100L11gemm_kernelIdiPKdPdPKS4_S4_EEvT0_S7_S7_T1_bT2_lS7_S7_lbT3_lS7_S7_lS8_T4_lS7_S7_l
; %bb.0:
	s_clause 0x1
	s_load_b32 s2, s[0:1], 0x9c
	s_load_b96 s[16:18], s[0:1], 0x0
	s_bfe_u32 s5, ttmp6, 0x4000c
	s_bfe_u32 s7, ttmp6, 0x40010
	s_and_b32 s6, ttmp7, 0xffff
	s_add_co_i32 s5, s5, 1
	s_add_co_i32 s7, s7, 1
	s_and_b32 s3, ttmp6, 15
	s_bfe_u32 s8, ttmp6, 0x40004
	s_mul_i32 s5, ttmp9, s5
	s_mul_i32 s7, s6, s7
	s_getreg_b32 s4, hwreg(HW_REG_IB_STS2, 6, 4)
	v_bfe_u32 v1, v0, 10, 10
	v_and_b32_e32 v0, 0x3ff, v0
	s_add_co_i32 s3, s3, s5
	s_add_co_i32 s8, s8, s7
	s_wait_kmcnt 0x0
	s_and_b32 s5, s2, 0xffff
	s_lshr_b32 s2, s2, 16
	s_cmp_eq_u32 s4, 0
	s_cselect_b32 s3, ttmp9, s3
	s_cselect_b32 s6, s6, s8
	v_mad_u32 v6, s3, s5, v0
	v_mad_u32 v7, s6, s2, v1
	s_mov_b32 s3, 0
	s_delay_alu instid0(VALU_DEP_2) | instskip(NEXT) | instid1(VALU_DEP_2)
	v_cmp_gt_i32_e32 vcc_lo, s16, v6
	v_cmp_gt_i32_e64 s2, s17, v7
	s_and_b32 s2, vcc_lo, s2
	s_delay_alu instid0(SALU_CYCLE_1)
	s_and_saveexec_b32 s5, s2
	s_cbranch_execz .LBB27_6
; %bb.1:
	s_clause 0x2
	s_load_b64 s[16:17], s[0:1], 0x78
	s_load_b64 s[20:21], s[0:1], 0x10
	s_load_b128 s[12:15], s[0:1], 0x68
	s_bfe_u32 s2, ttmp6, 0x40014
	s_lshr_b32 s5, ttmp7, 16
	s_add_co_i32 s2, s2, 1
	s_bfe_u32 s6, ttmp6, 0x40008
	s_mul_i32 s2, s5, s2
	s_delay_alu instid0(SALU_CYCLE_1)
	s_add_co_i32 s6, s6, s2
	s_cmp_eq_u32 s4, 0
	s_cselect_b32 s2, s5, s6
	s_cmp_lt_i32 s18, 1
	s_cbranch_scc1 .LBB27_4
; %bb.2:
	s_clause 0x2
	s_load_b128 s[24:27], s[0:1], 0x48
	s_load_b256 s[4:11], s[0:1], 0x20
	s_load_b64 s[22:23], s[0:1], 0x58
	v_mov_b64_e32 v[0:1], 0
	s_wait_kmcnt 0x0
	s_load_b64 s[24:25], s[24:25], s2 offset:0x0 scale_offset
	v_mul_lo_u32 v2, v6, s8
	v_mul_lo_u32 v4, v7, s23
	s_mul_u64 s[10:11], s[10:11], s[2:3]
	s_lshl_b64 s[6:7], s[6:7], 3
	s_lshl_b64 s[10:11], s[10:11], 3
	;; [unrolled: 1-line block ×3, first 2 shown]
	s_add_nc_u64 s[6:7], s[10:11], s[6:7]
	s_ashr_i32 s23, s22, 31
	s_add_nc_u64 s[4:5], s[4:5], s[6:7]
	s_delay_alu instid0(VALU_DEP_1) | instskip(NEXT) | instid1(VALU_DEP_1)
	v_dual_ashrrev_i32 v3, 31, v2 :: v_dual_ashrrev_i32 v5, 31, v4
	v_lshl_add_u64 v[2:3], v[2:3], 3, s[4:5]
	s_lshl_b64 s[4:5], s[22:23], 3
	s_wait_kmcnt 0x0
	s_add_nc_u64 s[6:7], s[24:25], s[26:27]
	s_delay_alu instid0(SALU_CYCLE_1) | instskip(SKIP_2) | instid1(SALU_CYCLE_1)
	v_lshl_add_u64 v[4:5], v[4:5], 3, s[6:7]
	s_ashr_i32 s7, s9, 31
	s_mov_b32 s6, s9
	s_lshl_b64 s[6:7], s[6:7], 3
.LBB27_3:                               ; =>This Inner Loop Header: Depth=1
	global_load_b64 v[8:9], v[2:3], off
	flat_load_b64 v[10:11], v[4:5]
	s_wait_xcnt 0x0
	v_add_nc_u64_e32 v[4:5], s[4:5], v[4:5]
	v_add_nc_u64_e32 v[2:3], s[6:7], v[2:3]
	s_add_co_i32 s18, s18, -1
	s_delay_alu instid0(SALU_CYCLE_1)
	s_cmp_eq_u32 s18, 0
	s_wait_loadcnt_dscnt 0x0
	v_fmac_f64_e32 v[0:1], v[8:9], v[10:11]
	s_cbranch_scc0 .LBB27_3
	s_branch .LBB27_5
.LBB27_4:
	v_mov_b64_e32 v[0:1], 0
.LBB27_5:
	s_wait_kmcnt 0x0
	s_load_b64 s[4:5], s[20:21], 0x0
	s_load_b64 s[6:7], s[12:13], 0x0
                                        ; kill: killed $sgpr20_sgpr21
                                        ; kill: killed $sgpr12_sgpr13
	s_load_b128 s[8:11], s[0:1], 0x80
	s_wait_kmcnt 0x0
	v_mul_lo_u32 v2, v6, s8
	s_mul_u64 s[0:1], s[10:11], s[2:3]
	s_lshl_b64 s[2:3], s[16:17], 3
	s_lshl_b64 s[0:1], s[0:1], 3
	s_delay_alu instid0(SALU_CYCLE_1) | instskip(NEXT) | instid1(SALU_CYCLE_1)
	s_add_nc_u64 s[0:1], s[14:15], s[0:1]
	s_add_nc_u64 s[0:1], s[0:1], s[2:3]
	s_delay_alu instid0(VALU_DEP_1) | instskip(SKIP_3) | instid1(VALU_DEP_1)
	v_mad_u32 v4, v7, s9, v2
	global_load_b64 v[2:3], v4, s[0:1] scale_offset
	s_wait_loadcnt 0x0
	v_mul_f64_e32 v[2:3], s[6:7], v[2:3]
	v_fmac_f64_e32 v[2:3], s[4:5], v[0:1]
	global_store_b64 v4, v[2:3], s[0:1] scale_offset
.LBB27_6:
	s_endpgm
	.section	.rodata,"a",@progbits
	.p2align	6, 0x0
	.amdhsa_kernel _ZN9rocsolver6v33100L11gemm_kernelIdiPKdPdPKS4_S4_EEvT0_S7_S7_T1_bT2_lS7_S7_lbT3_lS7_S7_lS8_T4_lS7_S7_l
		.amdhsa_group_segment_fixed_size 0
		.amdhsa_private_segment_fixed_size 0
		.amdhsa_kernarg_size 400
		.amdhsa_user_sgpr_count 2
		.amdhsa_user_sgpr_dispatch_ptr 0
		.amdhsa_user_sgpr_queue_ptr 0
		.amdhsa_user_sgpr_kernarg_segment_ptr 1
		.amdhsa_user_sgpr_dispatch_id 0
		.amdhsa_user_sgpr_kernarg_preload_length 0
		.amdhsa_user_sgpr_kernarg_preload_offset 0
		.amdhsa_user_sgpr_private_segment_size 0
		.amdhsa_wavefront_size32 1
		.amdhsa_uses_dynamic_stack 0
		.amdhsa_enable_private_segment 0
		.amdhsa_system_sgpr_workgroup_id_x 1
		.amdhsa_system_sgpr_workgroup_id_y 1
		.amdhsa_system_sgpr_workgroup_id_z 1
		.amdhsa_system_sgpr_workgroup_info 0
		.amdhsa_system_vgpr_workitem_id 1
		.amdhsa_next_free_vgpr 12
		.amdhsa_next_free_sgpr 28
		.amdhsa_named_barrier_count 0
		.amdhsa_reserve_vcc 1
		.amdhsa_float_round_mode_32 0
		.amdhsa_float_round_mode_16_64 0
		.amdhsa_float_denorm_mode_32 3
		.amdhsa_float_denorm_mode_16_64 3
		.amdhsa_fp16_overflow 0
		.amdhsa_memory_ordered 1
		.amdhsa_forward_progress 1
		.amdhsa_inst_pref_size 5
		.amdhsa_round_robin_scheduling 0
		.amdhsa_exception_fp_ieee_invalid_op 0
		.amdhsa_exception_fp_denorm_src 0
		.amdhsa_exception_fp_ieee_div_zero 0
		.amdhsa_exception_fp_ieee_overflow 0
		.amdhsa_exception_fp_ieee_underflow 0
		.amdhsa_exception_fp_ieee_inexact 0
		.amdhsa_exception_int_div_zero 0
	.end_amdhsa_kernel
	.section	.text._ZN9rocsolver6v33100L11gemm_kernelIdiPKdPdPKS4_S4_EEvT0_S7_S7_T1_bT2_lS7_S7_lbT3_lS7_S7_lS8_T4_lS7_S7_l,"axG",@progbits,_ZN9rocsolver6v33100L11gemm_kernelIdiPKdPdPKS4_S4_EEvT0_S7_S7_T1_bT2_lS7_S7_lbT3_lS7_S7_lS8_T4_lS7_S7_l,comdat
.Lfunc_end27:
	.size	_ZN9rocsolver6v33100L11gemm_kernelIdiPKdPdPKS4_S4_EEvT0_S7_S7_T1_bT2_lS7_S7_lbT3_lS7_S7_lS8_T4_lS7_S7_l, .Lfunc_end27-_ZN9rocsolver6v33100L11gemm_kernelIdiPKdPdPKS4_S4_EEvT0_S7_S7_T1_bT2_lS7_S7_lbT3_lS7_S7_lS8_T4_lS7_S7_l
                                        ; -- End function
	.set _ZN9rocsolver6v33100L11gemm_kernelIdiPKdPdPKS4_S4_EEvT0_S7_S7_T1_bT2_lS7_S7_lbT3_lS7_S7_lS8_T4_lS7_S7_l.num_vgpr, 12
	.set _ZN9rocsolver6v33100L11gemm_kernelIdiPKdPdPKS4_S4_EEvT0_S7_S7_T1_bT2_lS7_S7_lbT3_lS7_S7_lS8_T4_lS7_S7_l.num_agpr, 0
	.set _ZN9rocsolver6v33100L11gemm_kernelIdiPKdPdPKS4_S4_EEvT0_S7_S7_T1_bT2_lS7_S7_lbT3_lS7_S7_lS8_T4_lS7_S7_l.numbered_sgpr, 28
	.set _ZN9rocsolver6v33100L11gemm_kernelIdiPKdPdPKS4_S4_EEvT0_S7_S7_T1_bT2_lS7_S7_lbT3_lS7_S7_lS8_T4_lS7_S7_l.num_named_barrier, 0
	.set _ZN9rocsolver6v33100L11gemm_kernelIdiPKdPdPKS4_S4_EEvT0_S7_S7_T1_bT2_lS7_S7_lbT3_lS7_S7_lS8_T4_lS7_S7_l.private_seg_size, 0
	.set _ZN9rocsolver6v33100L11gemm_kernelIdiPKdPdPKS4_S4_EEvT0_S7_S7_T1_bT2_lS7_S7_lbT3_lS7_S7_lS8_T4_lS7_S7_l.uses_vcc, 1
	.set _ZN9rocsolver6v33100L11gemm_kernelIdiPKdPdPKS4_S4_EEvT0_S7_S7_T1_bT2_lS7_S7_lbT3_lS7_S7_lS8_T4_lS7_S7_l.uses_flat_scratch, 0
	.set _ZN9rocsolver6v33100L11gemm_kernelIdiPKdPdPKS4_S4_EEvT0_S7_S7_T1_bT2_lS7_S7_lbT3_lS7_S7_lS8_T4_lS7_S7_l.has_dyn_sized_stack, 0
	.set _ZN9rocsolver6v33100L11gemm_kernelIdiPKdPdPKS4_S4_EEvT0_S7_S7_T1_bT2_lS7_S7_lbT3_lS7_S7_lS8_T4_lS7_S7_l.has_recursion, 0
	.set _ZN9rocsolver6v33100L11gemm_kernelIdiPKdPdPKS4_S4_EEvT0_S7_S7_T1_bT2_lS7_S7_lbT3_lS7_S7_lS8_T4_lS7_S7_l.has_indirect_call, 0
	.section	.AMDGPU.csdata,"",@progbits
; Kernel info:
; codeLenInByte = 592
; TotalNumSgprs: 30
; NumVgprs: 12
; ScratchSize: 0
; MemoryBound: 0
; FloatMode: 240
; IeeeMode: 1
; LDSByteSize: 0 bytes/workgroup (compile time only)
; SGPRBlocks: 0
; VGPRBlocks: 0
; NumSGPRsForWavesPerEU: 30
; NumVGPRsForWavesPerEU: 12
; NamedBarCnt: 0
; Occupancy: 16
; WaveLimiterHint : 1
; COMPUTE_PGM_RSRC2:SCRATCH_EN: 0
; COMPUTE_PGM_RSRC2:USER_SGPR: 2
; COMPUTE_PGM_RSRC2:TRAP_HANDLER: 0
; COMPUTE_PGM_RSRC2:TGID_X_EN: 1
; COMPUTE_PGM_RSRC2:TGID_Y_EN: 1
; COMPUTE_PGM_RSRC2:TGID_Z_EN: 1
; COMPUTE_PGM_RSRC2:TIDIG_COMP_CNT: 1
	.section	.text._ZN9rocsolver6v33100L11gemm_kernelIdidPdPKS2_S2_EEvT0_S5_S5_T1_bT2_lS5_S5_lbT3_lS5_S5_lS6_T4_lS5_S5_l,"axG",@progbits,_ZN9rocsolver6v33100L11gemm_kernelIdidPdPKS2_S2_EEvT0_S5_S5_T1_bT2_lS5_S5_lbT3_lS5_S5_lS6_T4_lS5_S5_l,comdat
	.globl	_ZN9rocsolver6v33100L11gemm_kernelIdidPdPKS2_S2_EEvT0_S5_S5_T1_bT2_lS5_S5_lbT3_lS5_S5_lS6_T4_lS5_S5_l ; -- Begin function _ZN9rocsolver6v33100L11gemm_kernelIdidPdPKS2_S2_EEvT0_S5_S5_T1_bT2_lS5_S5_lbT3_lS5_S5_lS6_T4_lS5_S5_l
	.p2align	8
	.type	_ZN9rocsolver6v33100L11gemm_kernelIdidPdPKS2_S2_EEvT0_S5_S5_T1_bT2_lS5_S5_lbT3_lS5_S5_lS6_T4_lS5_S5_l,@function
_ZN9rocsolver6v33100L11gemm_kernelIdidPdPKS2_S2_EEvT0_S5_S5_T1_bT2_lS5_S5_lbT3_lS5_S5_lS6_T4_lS5_S5_l: ; @_ZN9rocsolver6v33100L11gemm_kernelIdidPdPKS2_S2_EEvT0_S5_S5_T1_bT2_lS5_S5_lbT3_lS5_S5_lS6_T4_lS5_S5_l
; %bb.0:
	s_clause 0x1
	s_load_b32 s2, s[0:1], 0x9c
	s_load_b96 s[12:14], s[0:1], 0x0
	s_bfe_u32 s5, ttmp6, 0x4000c
	s_bfe_u32 s7, ttmp6, 0x40010
	s_and_b32 s6, ttmp7, 0xffff
	s_add_co_i32 s5, s5, 1
	s_add_co_i32 s7, s7, 1
	s_and_b32 s3, ttmp6, 15
	s_bfe_u32 s8, ttmp6, 0x40004
	s_mul_i32 s5, ttmp9, s5
	s_mul_i32 s7, s6, s7
	s_getreg_b32 s4, hwreg(HW_REG_IB_STS2, 6, 4)
	v_bfe_u32 v1, v0, 10, 10
	v_and_b32_e32 v0, 0x3ff, v0
	s_add_co_i32 s3, s3, s5
	s_add_co_i32 s8, s8, s7
	s_wait_kmcnt 0x0
	s_and_b32 s5, s2, 0xffff
	s_lshr_b32 s2, s2, 16
	s_cmp_eq_u32 s4, 0
	s_cselect_b32 s3, ttmp9, s3
	s_cselect_b32 s6, s6, s8
	v_mad_u32 v6, s3, s5, v0
	v_mad_u32 v7, s6, s2, v1
	s_mov_b32 s3, 0
	s_delay_alu instid0(VALU_DEP_2) | instskip(NEXT) | instid1(VALU_DEP_2)
	v_cmp_gt_i32_e32 vcc_lo, s12, v6
	v_cmp_gt_i32_e64 s2, s13, v7
	s_and_b32 s2, vcc_lo, s2
	s_delay_alu instid0(SALU_CYCLE_1)
	s_and_saveexec_b32 s5, s2
	s_cbranch_execz .LBB28_6
; %bb.1:
	s_bfe_u32 s2, ttmp6, 0x40014
	s_lshr_b32 s5, ttmp7, 16
	s_add_co_i32 s2, s2, 1
	s_bfe_u32 s6, ttmp6, 0x40008
	s_mul_i32 s2, s5, s2
	s_delay_alu instid0(SALU_CYCLE_1)
	s_add_co_i32 s6, s6, s2
	s_cmp_eq_u32 s4, 0
	s_cselect_b32 s2, s5, s6
	s_cmp_lt_i32 s14, 1
	s_cbranch_scc1 .LBB28_4
; %bb.2:
	s_clause 0x2
	s_load_b128 s[16:19], s[0:1], 0x48
	s_load_b256 s[4:11], s[0:1], 0x20
	s_load_b64 s[12:13], s[0:1], 0x58
	v_mov_b64_e32 v[0:1], 0
	s_wait_kmcnt 0x0
	s_load_b64 s[16:17], s[16:17], s2 offset:0x0 scale_offset
	v_mul_lo_u32 v2, v6, s8
	v_mul_lo_u32 v4, v7, s13
	s_mul_u64 s[10:11], s[10:11], s[2:3]
	s_lshl_b64 s[6:7], s[6:7], 3
	s_lshl_b64 s[10:11], s[10:11], 3
	;; [unrolled: 1-line block ×3, first 2 shown]
	s_add_nc_u64 s[6:7], s[10:11], s[6:7]
	s_ashr_i32 s13, s12, 31
	s_add_nc_u64 s[4:5], s[4:5], s[6:7]
	s_delay_alu instid0(VALU_DEP_1) | instskip(NEXT) | instid1(VALU_DEP_1)
	v_dual_ashrrev_i32 v3, 31, v2 :: v_dual_ashrrev_i32 v5, 31, v4
	v_lshl_add_u64 v[2:3], v[2:3], 3, s[4:5]
	s_lshl_b64 s[4:5], s[12:13], 3
	s_wait_kmcnt 0x0
	s_add_nc_u64 s[6:7], s[16:17], s[18:19]
	s_delay_alu instid0(SALU_CYCLE_1) | instskip(SKIP_2) | instid1(SALU_CYCLE_1)
	v_lshl_add_u64 v[4:5], v[4:5], 3, s[6:7]
	s_ashr_i32 s7, s9, 31
	s_mov_b32 s6, s9
	s_lshl_b64 s[6:7], s[6:7], 3
.LBB28_3:                               ; =>This Inner Loop Header: Depth=1
	global_load_b64 v[8:9], v[2:3], off
	flat_load_b64 v[10:11], v[4:5]
	s_wait_xcnt 0x0
	v_add_nc_u64_e32 v[4:5], s[4:5], v[4:5]
	v_add_nc_u64_e32 v[2:3], s[6:7], v[2:3]
	s_add_co_i32 s14, s14, -1
	s_delay_alu instid0(SALU_CYCLE_1)
	s_cmp_eq_u32 s14, 0
	s_wait_loadcnt_dscnt 0x0
	v_fmac_f64_e32 v[0:1], v[8:9], v[10:11]
	s_cbranch_scc0 .LBB28_3
	s_branch .LBB28_5
.LBB28_4:
	v_mov_b64_e32 v[0:1], 0
.LBB28_5:
	s_clause 0x1
	s_load_b256 s[4:11], s[0:1], 0x68
	s_load_b64 s[12:13], s[0:1], 0x88
	s_wait_kmcnt 0x0
	v_mul_lo_u32 v2, v6, s10
	s_mul_u64 s[2:3], s[12:13], s[2:3]
	s_load_b64 s[0:1], s[0:1], 0x10
	s_lshl_b64 s[2:3], s[2:3], 3
	s_delay_alu instid0(SALU_CYCLE_1) | instskip(SKIP_1) | instid1(SALU_CYCLE_1)
	s_add_nc_u64 s[2:3], s[6:7], s[2:3]
	s_lshl_b64 s[6:7], s[8:9], 3
	s_add_nc_u64 s[2:3], s[2:3], s[6:7]
	s_delay_alu instid0(VALU_DEP_1) | instskip(SKIP_4) | instid1(VALU_DEP_1)
	v_mad_u32 v4, v7, s11, v2
	global_load_b64 v[2:3], v4, s[2:3] scale_offset
	s_wait_loadcnt 0x0
	v_mul_f64_e32 v[2:3], s[4:5], v[2:3]
	s_wait_kmcnt 0x0
	v_fmac_f64_e32 v[2:3], s[0:1], v[0:1]
	global_store_b64 v4, v[2:3], s[2:3] scale_offset
.LBB28_6:
	s_endpgm
	.section	.rodata,"a",@progbits
	.p2align	6, 0x0
	.amdhsa_kernel _ZN9rocsolver6v33100L11gemm_kernelIdidPdPKS2_S2_EEvT0_S5_S5_T1_bT2_lS5_S5_lbT3_lS5_S5_lS6_T4_lS5_S5_l
		.amdhsa_group_segment_fixed_size 0
		.amdhsa_private_segment_fixed_size 0
		.amdhsa_kernarg_size 400
		.amdhsa_user_sgpr_count 2
		.amdhsa_user_sgpr_dispatch_ptr 0
		.amdhsa_user_sgpr_queue_ptr 0
		.amdhsa_user_sgpr_kernarg_segment_ptr 1
		.amdhsa_user_sgpr_dispatch_id 0
		.amdhsa_user_sgpr_kernarg_preload_length 0
		.amdhsa_user_sgpr_kernarg_preload_offset 0
		.amdhsa_user_sgpr_private_segment_size 0
		.amdhsa_wavefront_size32 1
		.amdhsa_uses_dynamic_stack 0
		.amdhsa_enable_private_segment 0
		.amdhsa_system_sgpr_workgroup_id_x 1
		.amdhsa_system_sgpr_workgroup_id_y 1
		.amdhsa_system_sgpr_workgroup_id_z 1
		.amdhsa_system_sgpr_workgroup_info 0
		.amdhsa_system_vgpr_workitem_id 1
		.amdhsa_next_free_vgpr 12
		.amdhsa_next_free_sgpr 20
		.amdhsa_named_barrier_count 0
		.amdhsa_reserve_vcc 1
		.amdhsa_float_round_mode_32 0
		.amdhsa_float_round_mode_16_64 0
		.amdhsa_float_denorm_mode_32 3
		.amdhsa_float_denorm_mode_16_64 3
		.amdhsa_fp16_overflow 0
		.amdhsa_memory_ordered 1
		.amdhsa_forward_progress 1
		.amdhsa_inst_pref_size 5
		.amdhsa_round_robin_scheduling 0
		.amdhsa_exception_fp_ieee_invalid_op 0
		.amdhsa_exception_fp_denorm_src 0
		.amdhsa_exception_fp_ieee_div_zero 0
		.amdhsa_exception_fp_ieee_overflow 0
		.amdhsa_exception_fp_ieee_underflow 0
		.amdhsa_exception_fp_ieee_inexact 0
		.amdhsa_exception_int_div_zero 0
	.end_amdhsa_kernel
	.section	.text._ZN9rocsolver6v33100L11gemm_kernelIdidPdPKS2_S2_EEvT0_S5_S5_T1_bT2_lS5_S5_lbT3_lS5_S5_lS6_T4_lS5_S5_l,"axG",@progbits,_ZN9rocsolver6v33100L11gemm_kernelIdidPdPKS2_S2_EEvT0_S5_S5_T1_bT2_lS5_S5_lbT3_lS5_S5_lS6_T4_lS5_S5_l,comdat
.Lfunc_end28:
	.size	_ZN9rocsolver6v33100L11gemm_kernelIdidPdPKS2_S2_EEvT0_S5_S5_T1_bT2_lS5_S5_lbT3_lS5_S5_lS6_T4_lS5_S5_l, .Lfunc_end28-_ZN9rocsolver6v33100L11gemm_kernelIdidPdPKS2_S2_EEvT0_S5_S5_T1_bT2_lS5_S5_lbT3_lS5_S5_lS6_T4_lS5_S5_l
                                        ; -- End function
	.set _ZN9rocsolver6v33100L11gemm_kernelIdidPdPKS2_S2_EEvT0_S5_S5_T1_bT2_lS5_S5_lbT3_lS5_S5_lS6_T4_lS5_S5_l.num_vgpr, 12
	.set _ZN9rocsolver6v33100L11gemm_kernelIdidPdPKS2_S2_EEvT0_S5_S5_T1_bT2_lS5_S5_lbT3_lS5_S5_lS6_T4_lS5_S5_l.num_agpr, 0
	.set _ZN9rocsolver6v33100L11gemm_kernelIdidPdPKS2_S2_EEvT0_S5_S5_T1_bT2_lS5_S5_lbT3_lS5_S5_lS6_T4_lS5_S5_l.numbered_sgpr, 20
	.set _ZN9rocsolver6v33100L11gemm_kernelIdidPdPKS2_S2_EEvT0_S5_S5_T1_bT2_lS5_S5_lbT3_lS5_S5_lS6_T4_lS5_S5_l.num_named_barrier, 0
	.set _ZN9rocsolver6v33100L11gemm_kernelIdidPdPKS2_S2_EEvT0_S5_S5_T1_bT2_lS5_S5_lbT3_lS5_S5_lS6_T4_lS5_S5_l.private_seg_size, 0
	.set _ZN9rocsolver6v33100L11gemm_kernelIdidPdPKS2_S2_EEvT0_S5_S5_T1_bT2_lS5_S5_lbT3_lS5_S5_lS6_T4_lS5_S5_l.uses_vcc, 1
	.set _ZN9rocsolver6v33100L11gemm_kernelIdidPdPKS2_S2_EEvT0_S5_S5_T1_bT2_lS5_S5_lbT3_lS5_S5_lS6_T4_lS5_S5_l.uses_flat_scratch, 0
	.set _ZN9rocsolver6v33100L11gemm_kernelIdidPdPKS2_S2_EEvT0_S5_S5_T1_bT2_lS5_S5_lbT3_lS5_S5_lS6_T4_lS5_S5_l.has_dyn_sized_stack, 0
	.set _ZN9rocsolver6v33100L11gemm_kernelIdidPdPKS2_S2_EEvT0_S5_S5_T1_bT2_lS5_S5_lbT3_lS5_S5_lS6_T4_lS5_S5_l.has_recursion, 0
	.set _ZN9rocsolver6v33100L11gemm_kernelIdidPdPKS2_S2_EEvT0_S5_S5_T1_bT2_lS5_S5_lbT3_lS5_S5_lS6_T4_lS5_S5_l.has_indirect_call, 0
	.section	.AMDGPU.csdata,"",@progbits
; Kernel info:
; codeLenInByte = 568
; TotalNumSgprs: 22
; NumVgprs: 12
; ScratchSize: 0
; MemoryBound: 0
; FloatMode: 240
; IeeeMode: 1
; LDSByteSize: 0 bytes/workgroup (compile time only)
; SGPRBlocks: 0
; VGPRBlocks: 0
; NumSGPRsForWavesPerEU: 22
; NumVGPRsForWavesPerEU: 12
; NamedBarCnt: 0
; Occupancy: 16
; WaveLimiterHint : 1
; COMPUTE_PGM_RSRC2:SCRATCH_EN: 0
; COMPUTE_PGM_RSRC2:USER_SGPR: 2
; COMPUTE_PGM_RSRC2:TRAP_HANDLER: 0
; COMPUTE_PGM_RSRC2:TGID_X_EN: 1
; COMPUTE_PGM_RSRC2:TGID_Y_EN: 1
; COMPUTE_PGM_RSRC2:TGID_Z_EN: 1
; COMPUTE_PGM_RSRC2:TIDIG_COMP_CNT: 1
	.section	.text._ZN9rocsolver6v33100L16mfma_gemm_kernelIdiPKdPdS4_PKS4_EEv18rocblas_operation_S7_T0_S8_S8_T1_T2_lS8_S8_lT3_lS8_S8_lS9_T4_lS8_S8_l,"axG",@progbits,_ZN9rocsolver6v33100L16mfma_gemm_kernelIdiPKdPdS4_PKS4_EEv18rocblas_operation_S7_T0_S8_S8_T1_T2_lS8_S8_lT3_lS8_S8_lS9_T4_lS8_S8_l,comdat
	.globl	_ZN9rocsolver6v33100L16mfma_gemm_kernelIdiPKdPdS4_PKS4_EEv18rocblas_operation_S7_T0_S8_S8_T1_T2_lS8_S8_lT3_lS8_S8_lS9_T4_lS8_S8_l ; -- Begin function _ZN9rocsolver6v33100L16mfma_gemm_kernelIdiPKdPdS4_PKS4_EEv18rocblas_operation_S7_T0_S8_S8_T1_T2_lS8_S8_lT3_lS8_S8_lS9_T4_lS8_S8_l
	.p2align	8
	.type	_ZN9rocsolver6v33100L16mfma_gemm_kernelIdiPKdPdS4_PKS4_EEv18rocblas_operation_S7_T0_S8_S8_T1_T2_lS8_S8_lT3_lS8_S8_lS9_T4_lS8_S8_l,@function
_ZN9rocsolver6v33100L16mfma_gemm_kernelIdiPKdPdS4_PKS4_EEv18rocblas_operation_S7_T0_S8_S8_T1_T2_lS8_S8_lT3_lS8_S8_lS9_T4_lS8_S8_l: ; @_ZN9rocsolver6v33100L16mfma_gemm_kernelIdiPKdPdS4_PKS4_EEv18rocblas_operation_S7_T0_S8_S8_T1_T2_lS8_S8_lT3_lS8_S8_lS9_T4_lS8_S8_l
; %bb.0:
	s_endpgm
	.section	.rodata,"a",@progbits
	.p2align	6, 0x0
	.amdhsa_kernel _ZN9rocsolver6v33100L16mfma_gemm_kernelIdiPKdPdS4_PKS4_EEv18rocblas_operation_S7_T0_S8_S8_T1_T2_lS8_S8_lT3_lS8_S8_lS9_T4_lS8_S8_l
		.amdhsa_group_segment_fixed_size 0
		.amdhsa_private_segment_fixed_size 0
		.amdhsa_kernarg_size 136
		.amdhsa_user_sgpr_count 2
		.amdhsa_user_sgpr_dispatch_ptr 0
		.amdhsa_user_sgpr_queue_ptr 0
		.amdhsa_user_sgpr_kernarg_segment_ptr 1
		.amdhsa_user_sgpr_dispatch_id 0
		.amdhsa_user_sgpr_kernarg_preload_length 0
		.amdhsa_user_sgpr_kernarg_preload_offset 0
		.amdhsa_user_sgpr_private_segment_size 0
		.amdhsa_wavefront_size32 1
		.amdhsa_uses_dynamic_stack 0
		.amdhsa_enable_private_segment 0
		.amdhsa_system_sgpr_workgroup_id_x 1
		.amdhsa_system_sgpr_workgroup_id_y 0
		.amdhsa_system_sgpr_workgroup_id_z 0
		.amdhsa_system_sgpr_workgroup_info 0
		.amdhsa_system_vgpr_workitem_id 0
		.amdhsa_next_free_vgpr 1
		.amdhsa_next_free_sgpr 1
		.amdhsa_named_barrier_count 0
		.amdhsa_reserve_vcc 0
		.amdhsa_float_round_mode_32 0
		.amdhsa_float_round_mode_16_64 0
		.amdhsa_float_denorm_mode_32 3
		.amdhsa_float_denorm_mode_16_64 3
		.amdhsa_fp16_overflow 0
		.amdhsa_memory_ordered 1
		.amdhsa_forward_progress 1
		.amdhsa_inst_pref_size 1
		.amdhsa_round_robin_scheduling 0
		.amdhsa_exception_fp_ieee_invalid_op 0
		.amdhsa_exception_fp_denorm_src 0
		.amdhsa_exception_fp_ieee_div_zero 0
		.amdhsa_exception_fp_ieee_overflow 0
		.amdhsa_exception_fp_ieee_underflow 0
		.amdhsa_exception_fp_ieee_inexact 0
		.amdhsa_exception_int_div_zero 0
	.end_amdhsa_kernel
	.section	.text._ZN9rocsolver6v33100L16mfma_gemm_kernelIdiPKdPdS4_PKS4_EEv18rocblas_operation_S7_T0_S8_S8_T1_T2_lS8_S8_lT3_lS8_S8_lS9_T4_lS8_S8_l,"axG",@progbits,_ZN9rocsolver6v33100L16mfma_gemm_kernelIdiPKdPdS4_PKS4_EEv18rocblas_operation_S7_T0_S8_S8_T1_T2_lS8_S8_lT3_lS8_S8_lS9_T4_lS8_S8_l,comdat
.Lfunc_end29:
	.size	_ZN9rocsolver6v33100L16mfma_gemm_kernelIdiPKdPdS4_PKS4_EEv18rocblas_operation_S7_T0_S8_S8_T1_T2_lS8_S8_lT3_lS8_S8_lS9_T4_lS8_S8_l, .Lfunc_end29-_ZN9rocsolver6v33100L16mfma_gemm_kernelIdiPKdPdS4_PKS4_EEv18rocblas_operation_S7_T0_S8_S8_T1_T2_lS8_S8_lT3_lS8_S8_lS9_T4_lS8_S8_l
                                        ; -- End function
	.set _ZN9rocsolver6v33100L16mfma_gemm_kernelIdiPKdPdS4_PKS4_EEv18rocblas_operation_S7_T0_S8_S8_T1_T2_lS8_S8_lT3_lS8_S8_lS9_T4_lS8_S8_l.num_vgpr, 0
	.set _ZN9rocsolver6v33100L16mfma_gemm_kernelIdiPKdPdS4_PKS4_EEv18rocblas_operation_S7_T0_S8_S8_T1_T2_lS8_S8_lT3_lS8_S8_lS9_T4_lS8_S8_l.num_agpr, 0
	.set _ZN9rocsolver6v33100L16mfma_gemm_kernelIdiPKdPdS4_PKS4_EEv18rocblas_operation_S7_T0_S8_S8_T1_T2_lS8_S8_lT3_lS8_S8_lS9_T4_lS8_S8_l.numbered_sgpr, 0
	.set _ZN9rocsolver6v33100L16mfma_gemm_kernelIdiPKdPdS4_PKS4_EEv18rocblas_operation_S7_T0_S8_S8_T1_T2_lS8_S8_lT3_lS8_S8_lS9_T4_lS8_S8_l.num_named_barrier, 0
	.set _ZN9rocsolver6v33100L16mfma_gemm_kernelIdiPKdPdS4_PKS4_EEv18rocblas_operation_S7_T0_S8_S8_T1_T2_lS8_S8_lT3_lS8_S8_lS9_T4_lS8_S8_l.private_seg_size, 0
	.set _ZN9rocsolver6v33100L16mfma_gemm_kernelIdiPKdPdS4_PKS4_EEv18rocblas_operation_S7_T0_S8_S8_T1_T2_lS8_S8_lT3_lS8_S8_lS9_T4_lS8_S8_l.uses_vcc, 0
	.set _ZN9rocsolver6v33100L16mfma_gemm_kernelIdiPKdPdS4_PKS4_EEv18rocblas_operation_S7_T0_S8_S8_T1_T2_lS8_S8_lT3_lS8_S8_lS9_T4_lS8_S8_l.uses_flat_scratch, 0
	.set _ZN9rocsolver6v33100L16mfma_gemm_kernelIdiPKdPdS4_PKS4_EEv18rocblas_operation_S7_T0_S8_S8_T1_T2_lS8_S8_lT3_lS8_S8_lS9_T4_lS8_S8_l.has_dyn_sized_stack, 0
	.set _ZN9rocsolver6v33100L16mfma_gemm_kernelIdiPKdPdS4_PKS4_EEv18rocblas_operation_S7_T0_S8_S8_T1_T2_lS8_S8_lT3_lS8_S8_lS9_T4_lS8_S8_l.has_recursion, 0
	.set _ZN9rocsolver6v33100L16mfma_gemm_kernelIdiPKdPdS4_PKS4_EEv18rocblas_operation_S7_T0_S8_S8_T1_T2_lS8_S8_lT3_lS8_S8_lS9_T4_lS8_S8_l.has_indirect_call, 0
	.section	.AMDGPU.csdata,"",@progbits
; Kernel info:
; codeLenInByte = 4
; TotalNumSgprs: 0
; NumVgprs: 0
; ScratchSize: 0
; MemoryBound: 0
; FloatMode: 240
; IeeeMode: 1
; LDSByteSize: 0 bytes/workgroup (compile time only)
; SGPRBlocks: 0
; VGPRBlocks: 0
; NumSGPRsForWavesPerEU: 1
; NumVGPRsForWavesPerEU: 1
; NamedBarCnt: 0
; Occupancy: 16
; WaveLimiterHint : 0
; COMPUTE_PGM_RSRC2:SCRATCH_EN: 0
; COMPUTE_PGM_RSRC2:USER_SGPR: 2
; COMPUTE_PGM_RSRC2:TRAP_HANDLER: 0
; COMPUTE_PGM_RSRC2:TGID_X_EN: 1
; COMPUTE_PGM_RSRC2:TGID_Y_EN: 0
; COMPUTE_PGM_RSRC2:TGID_Z_EN: 0
; COMPUTE_PGM_RSRC2:TIDIG_COMP_CNT: 0
	.section	.text._ZN9rocsolver6v33100L16mfma_gemm_kernelIdidPdS2_PKS2_EEv18rocblas_operation_S5_T0_S6_S6_T1_T2_lS6_S6_lT3_lS6_S6_lS7_T4_lS6_S6_l,"axG",@progbits,_ZN9rocsolver6v33100L16mfma_gemm_kernelIdidPdS2_PKS2_EEv18rocblas_operation_S5_T0_S6_S6_T1_T2_lS6_S6_lT3_lS6_S6_lS7_T4_lS6_S6_l,comdat
	.globl	_ZN9rocsolver6v33100L16mfma_gemm_kernelIdidPdS2_PKS2_EEv18rocblas_operation_S5_T0_S6_S6_T1_T2_lS6_S6_lT3_lS6_S6_lS7_T4_lS6_S6_l ; -- Begin function _ZN9rocsolver6v33100L16mfma_gemm_kernelIdidPdS2_PKS2_EEv18rocblas_operation_S5_T0_S6_S6_T1_T2_lS6_S6_lT3_lS6_S6_lS7_T4_lS6_S6_l
	.p2align	8
	.type	_ZN9rocsolver6v33100L16mfma_gemm_kernelIdidPdS2_PKS2_EEv18rocblas_operation_S5_T0_S6_S6_T1_T2_lS6_S6_lT3_lS6_S6_lS7_T4_lS6_S6_l,@function
_ZN9rocsolver6v33100L16mfma_gemm_kernelIdidPdS2_PKS2_EEv18rocblas_operation_S5_T0_S6_S6_T1_T2_lS6_S6_lT3_lS6_S6_lS7_T4_lS6_S6_l: ; @_ZN9rocsolver6v33100L16mfma_gemm_kernelIdidPdS2_PKS2_EEv18rocblas_operation_S5_T0_S6_S6_T1_T2_lS6_S6_lT3_lS6_S6_lS7_T4_lS6_S6_l
; %bb.0:
	s_endpgm
	.section	.rodata,"a",@progbits
	.p2align	6, 0x0
	.amdhsa_kernel _ZN9rocsolver6v33100L16mfma_gemm_kernelIdidPdS2_PKS2_EEv18rocblas_operation_S5_T0_S6_S6_T1_T2_lS6_S6_lT3_lS6_S6_lS7_T4_lS6_S6_l
		.amdhsa_group_segment_fixed_size 0
		.amdhsa_private_segment_fixed_size 0
		.amdhsa_kernarg_size 136
		.amdhsa_user_sgpr_count 2
		.amdhsa_user_sgpr_dispatch_ptr 0
		.amdhsa_user_sgpr_queue_ptr 0
		.amdhsa_user_sgpr_kernarg_segment_ptr 1
		.amdhsa_user_sgpr_dispatch_id 0
		.amdhsa_user_sgpr_kernarg_preload_length 0
		.amdhsa_user_sgpr_kernarg_preload_offset 0
		.amdhsa_user_sgpr_private_segment_size 0
		.amdhsa_wavefront_size32 1
		.amdhsa_uses_dynamic_stack 0
		.amdhsa_enable_private_segment 0
		.amdhsa_system_sgpr_workgroup_id_x 1
		.amdhsa_system_sgpr_workgroup_id_y 0
		.amdhsa_system_sgpr_workgroup_id_z 0
		.amdhsa_system_sgpr_workgroup_info 0
		.amdhsa_system_vgpr_workitem_id 0
		.amdhsa_next_free_vgpr 1
		.amdhsa_next_free_sgpr 1
		.amdhsa_named_barrier_count 0
		.amdhsa_reserve_vcc 0
		.amdhsa_float_round_mode_32 0
		.amdhsa_float_round_mode_16_64 0
		.amdhsa_float_denorm_mode_32 3
		.amdhsa_float_denorm_mode_16_64 3
		.amdhsa_fp16_overflow 0
		.amdhsa_memory_ordered 1
		.amdhsa_forward_progress 1
		.amdhsa_inst_pref_size 1
		.amdhsa_round_robin_scheduling 0
		.amdhsa_exception_fp_ieee_invalid_op 0
		.amdhsa_exception_fp_denorm_src 0
		.amdhsa_exception_fp_ieee_div_zero 0
		.amdhsa_exception_fp_ieee_overflow 0
		.amdhsa_exception_fp_ieee_underflow 0
		.amdhsa_exception_fp_ieee_inexact 0
		.amdhsa_exception_int_div_zero 0
	.end_amdhsa_kernel
	.section	.text._ZN9rocsolver6v33100L16mfma_gemm_kernelIdidPdS2_PKS2_EEv18rocblas_operation_S5_T0_S6_S6_T1_T2_lS6_S6_lT3_lS6_S6_lS7_T4_lS6_S6_l,"axG",@progbits,_ZN9rocsolver6v33100L16mfma_gemm_kernelIdidPdS2_PKS2_EEv18rocblas_operation_S5_T0_S6_S6_T1_T2_lS6_S6_lT3_lS6_S6_lS7_T4_lS6_S6_l,comdat
.Lfunc_end30:
	.size	_ZN9rocsolver6v33100L16mfma_gemm_kernelIdidPdS2_PKS2_EEv18rocblas_operation_S5_T0_S6_S6_T1_T2_lS6_S6_lT3_lS6_S6_lS7_T4_lS6_S6_l, .Lfunc_end30-_ZN9rocsolver6v33100L16mfma_gemm_kernelIdidPdS2_PKS2_EEv18rocblas_operation_S5_T0_S6_S6_T1_T2_lS6_S6_lT3_lS6_S6_lS7_T4_lS6_S6_l
                                        ; -- End function
	.set _ZN9rocsolver6v33100L16mfma_gemm_kernelIdidPdS2_PKS2_EEv18rocblas_operation_S5_T0_S6_S6_T1_T2_lS6_S6_lT3_lS6_S6_lS7_T4_lS6_S6_l.num_vgpr, 0
	.set _ZN9rocsolver6v33100L16mfma_gemm_kernelIdidPdS2_PKS2_EEv18rocblas_operation_S5_T0_S6_S6_T1_T2_lS6_S6_lT3_lS6_S6_lS7_T4_lS6_S6_l.num_agpr, 0
	.set _ZN9rocsolver6v33100L16mfma_gemm_kernelIdidPdS2_PKS2_EEv18rocblas_operation_S5_T0_S6_S6_T1_T2_lS6_S6_lT3_lS6_S6_lS7_T4_lS6_S6_l.numbered_sgpr, 0
	.set _ZN9rocsolver6v33100L16mfma_gemm_kernelIdidPdS2_PKS2_EEv18rocblas_operation_S5_T0_S6_S6_T1_T2_lS6_S6_lT3_lS6_S6_lS7_T4_lS6_S6_l.num_named_barrier, 0
	.set _ZN9rocsolver6v33100L16mfma_gemm_kernelIdidPdS2_PKS2_EEv18rocblas_operation_S5_T0_S6_S6_T1_T2_lS6_S6_lT3_lS6_S6_lS7_T4_lS6_S6_l.private_seg_size, 0
	.set _ZN9rocsolver6v33100L16mfma_gemm_kernelIdidPdS2_PKS2_EEv18rocblas_operation_S5_T0_S6_S6_T1_T2_lS6_S6_lT3_lS6_S6_lS7_T4_lS6_S6_l.uses_vcc, 0
	.set _ZN9rocsolver6v33100L16mfma_gemm_kernelIdidPdS2_PKS2_EEv18rocblas_operation_S5_T0_S6_S6_T1_T2_lS6_S6_lT3_lS6_S6_lS7_T4_lS6_S6_l.uses_flat_scratch, 0
	.set _ZN9rocsolver6v33100L16mfma_gemm_kernelIdidPdS2_PKS2_EEv18rocblas_operation_S5_T0_S6_S6_T1_T2_lS6_S6_lT3_lS6_S6_lS7_T4_lS6_S6_l.has_dyn_sized_stack, 0
	.set _ZN9rocsolver6v33100L16mfma_gemm_kernelIdidPdS2_PKS2_EEv18rocblas_operation_S5_T0_S6_S6_T1_T2_lS6_S6_lT3_lS6_S6_lS7_T4_lS6_S6_l.has_recursion, 0
	.set _ZN9rocsolver6v33100L16mfma_gemm_kernelIdidPdS2_PKS2_EEv18rocblas_operation_S5_T0_S6_S6_T1_T2_lS6_S6_lT3_lS6_S6_lS7_T4_lS6_S6_l.has_indirect_call, 0
	.section	.AMDGPU.csdata,"",@progbits
; Kernel info:
; codeLenInByte = 4
; TotalNumSgprs: 0
; NumVgprs: 0
; ScratchSize: 0
; MemoryBound: 0
; FloatMode: 240
; IeeeMode: 1
; LDSByteSize: 0 bytes/workgroup (compile time only)
; SGPRBlocks: 0
; VGPRBlocks: 0
; NumSGPRsForWavesPerEU: 1
; NumVGPRsForWavesPerEU: 1
; NamedBarCnt: 0
; Occupancy: 16
; WaveLimiterHint : 0
; COMPUTE_PGM_RSRC2:SCRATCH_EN: 0
; COMPUTE_PGM_RSRC2:USER_SGPR: 2
; COMPUTE_PGM_RSRC2:TRAP_HANDLER: 0
; COMPUTE_PGM_RSRC2:TGID_X_EN: 1
; COMPUTE_PGM_RSRC2:TGID_Y_EN: 0
; COMPUTE_PGM_RSRC2:TGID_Z_EN: 0
; COMPUTE_PGM_RSRC2:TIDIG_COMP_CNT: 0
	.section	.text._ZN9rocsolver6v33100L11gemm_kernelIdiPKdPdS4_PKS4_EEvT0_S7_S7_T1_bT2_lS7_S7_lbT3_lS7_S7_lS8_T4_lS7_S7_l,"axG",@progbits,_ZN9rocsolver6v33100L11gemm_kernelIdiPKdPdS4_PKS4_EEvT0_S7_S7_T1_bT2_lS7_S7_lbT3_lS7_S7_lS8_T4_lS7_S7_l,comdat
	.globl	_ZN9rocsolver6v33100L11gemm_kernelIdiPKdPdS4_PKS4_EEvT0_S7_S7_T1_bT2_lS7_S7_lbT3_lS7_S7_lS8_T4_lS7_S7_l ; -- Begin function _ZN9rocsolver6v33100L11gemm_kernelIdiPKdPdS4_PKS4_EEvT0_S7_S7_T1_bT2_lS7_S7_lbT3_lS7_S7_lS8_T4_lS7_S7_l
	.p2align	8
	.type	_ZN9rocsolver6v33100L11gemm_kernelIdiPKdPdS4_PKS4_EEvT0_S7_S7_T1_bT2_lS7_S7_lbT3_lS7_S7_lS8_T4_lS7_S7_l,@function
_ZN9rocsolver6v33100L11gemm_kernelIdiPKdPdS4_PKS4_EEvT0_S7_S7_T1_bT2_lS7_S7_lbT3_lS7_S7_lS8_T4_lS7_S7_l: ; @_ZN9rocsolver6v33100L11gemm_kernelIdiPKdPdS4_PKS4_EEvT0_S7_S7_T1_bT2_lS7_S7_lbT3_lS7_S7_lS8_T4_lS7_S7_l
; %bb.0:
	s_clause 0x1
	s_load_b32 s2, s[0:1], 0x9c
	s_load_b96 s[24:26], s[0:1], 0x0
	s_bfe_u32 s4, ttmp6, 0x4000c
	s_bfe_u32 s6, ttmp6, 0x40010
	s_and_b32 s5, ttmp7, 0xffff
	s_add_co_i32 s4, s4, 1
	s_add_co_i32 s6, s6, 1
	s_and_b32 s3, ttmp6, 15
	s_bfe_u32 s7, ttmp6, 0x40004
	s_mul_i32 s4, ttmp9, s4
	s_mul_i32 s6, s5, s6
	s_getreg_b32 s12, hwreg(HW_REG_IB_STS2, 6, 4)
	v_bfe_u32 v1, v0, 10, 10
	v_and_b32_e32 v0, 0x3ff, v0
	s_add_co_i32 s3, s3, s4
	s_add_co_i32 s7, s7, s6
	s_wait_kmcnt 0x0
	s_and_b32 s4, s2, 0xffff
	s_lshr_b32 s2, s2, 16
	s_cmp_eq_u32 s12, 0
	s_cselect_b32 s3, ttmp9, s3
	s_cselect_b32 s5, s5, s7
	v_mad_u32 v6, s3, s4, v0
	v_mad_u32 v7, s5, s2, v1
	s_mov_b32 s3, 0
	s_delay_alu instid0(VALU_DEP_2) | instskip(NEXT) | instid1(VALU_DEP_2)
	v_cmp_gt_i32_e32 vcc_lo, s24, v6
	v_cmp_gt_i32_e64 s2, s25, v7
	s_and_b32 s2, vcc_lo, s2
	s_delay_alu instid0(SALU_CYCLE_1)
	s_and_saveexec_b32 s4, s2
	s_cbranch_execz .LBB31_6
; %bb.1:
	s_clause 0x1
	s_load_b64 s[24:25], s[0:1], 0x10
	s_load_b256 s[4:11], s[0:1], 0x60
	s_bfe_u32 s2, ttmp6, 0x40014
	s_lshr_b32 s13, ttmp7, 16
	s_add_co_i32 s2, s2, 1
	s_bfe_u32 s14, ttmp6, 0x40008
	s_mul_i32 s2, s13, s2
	s_delay_alu instid0(SALU_CYCLE_1)
	s_add_co_i32 s14, s14, s2
	s_cmp_eq_u32 s12, 0
	s_cselect_b32 s2, s13, s14
	s_cmp_lt_i32 s26, 1
	s_cbranch_scc1 .LBB31_4
; %bb.2:
	s_clause 0x2
	s_load_b64 s[28:29], s[0:1], 0x58
	s_load_b256 s[12:19], s[0:1], 0x20
	s_load_b128 s[20:23], s[0:1], 0x48
	s_wait_kmcnt 0x0
	s_mul_u64 s[4:5], s[4:5], s[2:3]
	v_mov_b64_e32 v[0:1], 0
	s_lshl_b64 s[4:5], s[4:5], 3
	v_mul_lo_u32 v2, v7, s29
	v_mul_lo_u32 v4, v6, s16
	s_mul_u64 s[18:19], s[18:19], s[2:3]
	s_lshl_b64 s[22:23], s[22:23], 3
	s_lshl_b64 s[14:15], s[14:15], 3
	;; [unrolled: 1-line block ×3, first 2 shown]
	s_add_nc_u64 s[4:5], s[4:5], s[22:23]
	s_add_nc_u64 s[14:15], s[18:19], s[14:15]
	;; [unrolled: 1-line block ×4, first 2 shown]
	s_ashr_i32 s29, s28, 31
	s_delay_alu instid0(VALU_DEP_1) | instskip(NEXT) | instid1(VALU_DEP_1)
	v_dual_ashrrev_i32 v3, 31, v2 :: v_dual_ashrrev_i32 v5, 31, v4
	v_lshl_add_u64 v[2:3], v[2:3], 3, s[4:5]
	s_delay_alu instid0(VALU_DEP_2)
	v_lshl_add_u64 v[4:5], v[4:5], 3, s[12:13]
	s_ashr_i32 s13, s17, 31
	s_mov_b32 s12, s17
	s_lshl_b64 s[4:5], s[28:29], 3
	s_lshl_b64 s[12:13], s[12:13], 3
.LBB31_3:                               ; =>This Inner Loop Header: Depth=1
	global_load_b64 v[8:9], v[4:5], off
	global_load_b64 v[10:11], v[2:3], off
	s_wait_xcnt 0x0
	v_add_nc_u64_e32 v[2:3], s[4:5], v[2:3]
	v_add_nc_u64_e32 v[4:5], s[12:13], v[4:5]
	s_add_co_i32 s26, s26, -1
	s_delay_alu instid0(SALU_CYCLE_1)
	s_cmp_eq_u32 s26, 0
	s_wait_loadcnt 0x0
	v_fmac_f64_e32 v[0:1], v[8:9], v[10:11]
	s_cbranch_scc0 .LBB31_3
	s_branch .LBB31_5
.LBB31_4:
	v_mov_b64_e32 v[0:1], 0
.LBB31_5:
	s_wait_kmcnt 0x0
	s_load_b64 s[4:5], s[24:25], 0x0
	s_load_b64 s[12:13], s[6:7], 0x0
	s_load_b64 s[14:15], s[8:9], s2 offset:0x0 scale_offset
                                        ; kill: killed $sgpr2
                                        ; kill: killed $sgpr24_sgpr25
                                        ; kill: killed $sgpr6_sgpr7 killed $sgpr8_sgpr9
	s_nop 0
	s_load_b64 s[0:1], s[0:1], 0x80
	s_wait_kmcnt 0x0
	v_mul_lo_u32 v2, v6, s0
	s_delay_alu instid0(VALU_DEP_1) | instskip(SKIP_1) | instid1(SALU_CYCLE_1)
	v_mad_u32 v4, v7, s1, v2
	s_lshl_b64 s[0:1], s[10:11], 3
	s_add_nc_u64 s[0:1], s[14:15], s[0:1]
	flat_load_b64 v[2:3], v4, s[0:1] scale_offset
	s_wait_loadcnt_dscnt 0x0
	v_mul_f64_e32 v[2:3], s[12:13], v[2:3]
	s_delay_alu instid0(VALU_DEP_1)
	v_fmac_f64_e32 v[2:3], s[4:5], v[0:1]
	flat_store_b64 v4, v[2:3], s[0:1] scale_offset
.LBB31_6:
	s_endpgm
	.section	.rodata,"a",@progbits
	.p2align	6, 0x0
	.amdhsa_kernel _ZN9rocsolver6v33100L11gemm_kernelIdiPKdPdS4_PKS4_EEvT0_S7_S7_T1_bT2_lS7_S7_lbT3_lS7_S7_lS8_T4_lS7_S7_l
		.amdhsa_group_segment_fixed_size 0
		.amdhsa_private_segment_fixed_size 0
		.amdhsa_kernarg_size 400
		.amdhsa_user_sgpr_count 2
		.amdhsa_user_sgpr_dispatch_ptr 0
		.amdhsa_user_sgpr_queue_ptr 0
		.amdhsa_user_sgpr_kernarg_segment_ptr 1
		.amdhsa_user_sgpr_dispatch_id 0
		.amdhsa_user_sgpr_kernarg_preload_length 0
		.amdhsa_user_sgpr_kernarg_preload_offset 0
		.amdhsa_user_sgpr_private_segment_size 0
		.amdhsa_wavefront_size32 1
		.amdhsa_uses_dynamic_stack 0
		.amdhsa_enable_private_segment 0
		.amdhsa_system_sgpr_workgroup_id_x 1
		.amdhsa_system_sgpr_workgroup_id_y 1
		.amdhsa_system_sgpr_workgroup_id_z 1
		.amdhsa_system_sgpr_workgroup_info 0
		.amdhsa_system_vgpr_workitem_id 1
		.amdhsa_next_free_vgpr 12
		.amdhsa_next_free_sgpr 30
		.amdhsa_named_barrier_count 0
		.amdhsa_reserve_vcc 1
		.amdhsa_float_round_mode_32 0
		.amdhsa_float_round_mode_16_64 0
		.amdhsa_float_denorm_mode_32 3
		.amdhsa_float_denorm_mode_16_64 3
		.amdhsa_fp16_overflow 0
		.amdhsa_memory_ordered 1
		.amdhsa_forward_progress 1
		.amdhsa_inst_pref_size 5
		.amdhsa_round_robin_scheduling 0
		.amdhsa_exception_fp_ieee_invalid_op 0
		.amdhsa_exception_fp_denorm_src 0
		.amdhsa_exception_fp_ieee_div_zero 0
		.amdhsa_exception_fp_ieee_overflow 0
		.amdhsa_exception_fp_ieee_underflow 0
		.amdhsa_exception_fp_ieee_inexact 0
		.amdhsa_exception_int_div_zero 0
	.end_amdhsa_kernel
	.section	.text._ZN9rocsolver6v33100L11gemm_kernelIdiPKdPdS4_PKS4_EEvT0_S7_S7_T1_bT2_lS7_S7_lbT3_lS7_S7_lS8_T4_lS7_S7_l,"axG",@progbits,_ZN9rocsolver6v33100L11gemm_kernelIdiPKdPdS4_PKS4_EEvT0_S7_S7_T1_bT2_lS7_S7_lbT3_lS7_S7_lS8_T4_lS7_S7_l,comdat
.Lfunc_end31:
	.size	_ZN9rocsolver6v33100L11gemm_kernelIdiPKdPdS4_PKS4_EEvT0_S7_S7_T1_bT2_lS7_S7_lbT3_lS7_S7_lS8_T4_lS7_S7_l, .Lfunc_end31-_ZN9rocsolver6v33100L11gemm_kernelIdiPKdPdS4_PKS4_EEvT0_S7_S7_T1_bT2_lS7_S7_lbT3_lS7_S7_lS8_T4_lS7_S7_l
                                        ; -- End function
	.set _ZN9rocsolver6v33100L11gemm_kernelIdiPKdPdS4_PKS4_EEvT0_S7_S7_T1_bT2_lS7_S7_lbT3_lS7_S7_lS8_T4_lS7_S7_l.num_vgpr, 12
	.set _ZN9rocsolver6v33100L11gemm_kernelIdiPKdPdS4_PKS4_EEvT0_S7_S7_T1_bT2_lS7_S7_lbT3_lS7_S7_lS8_T4_lS7_S7_l.num_agpr, 0
	.set _ZN9rocsolver6v33100L11gemm_kernelIdiPKdPdS4_PKS4_EEvT0_S7_S7_T1_bT2_lS7_S7_lbT3_lS7_S7_lS8_T4_lS7_S7_l.numbered_sgpr, 30
	.set _ZN9rocsolver6v33100L11gemm_kernelIdiPKdPdS4_PKS4_EEvT0_S7_S7_T1_bT2_lS7_S7_lbT3_lS7_S7_lS8_T4_lS7_S7_l.num_named_barrier, 0
	.set _ZN9rocsolver6v33100L11gemm_kernelIdiPKdPdS4_PKS4_EEvT0_S7_S7_T1_bT2_lS7_S7_lbT3_lS7_S7_lS8_T4_lS7_S7_l.private_seg_size, 0
	.set _ZN9rocsolver6v33100L11gemm_kernelIdiPKdPdS4_PKS4_EEvT0_S7_S7_T1_bT2_lS7_S7_lbT3_lS7_S7_lS8_T4_lS7_S7_l.uses_vcc, 1
	.set _ZN9rocsolver6v33100L11gemm_kernelIdiPKdPdS4_PKS4_EEvT0_S7_S7_T1_bT2_lS7_S7_lbT3_lS7_S7_lS8_T4_lS7_S7_l.uses_flat_scratch, 0
	.set _ZN9rocsolver6v33100L11gemm_kernelIdiPKdPdS4_PKS4_EEvT0_S7_S7_T1_bT2_lS7_S7_lbT3_lS7_S7_lS8_T4_lS7_S7_l.has_dyn_sized_stack, 0
	.set _ZN9rocsolver6v33100L11gemm_kernelIdiPKdPdS4_PKS4_EEvT0_S7_S7_T1_bT2_lS7_S7_lbT3_lS7_S7_lS8_T4_lS7_S7_l.has_recursion, 0
	.set _ZN9rocsolver6v33100L11gemm_kernelIdiPKdPdS4_PKS4_EEvT0_S7_S7_T1_bT2_lS7_S7_lbT3_lS7_S7_lS8_T4_lS7_S7_l.has_indirect_call, 0
	.section	.AMDGPU.csdata,"",@progbits
; Kernel info:
; codeLenInByte = 584
; TotalNumSgprs: 32
; NumVgprs: 12
; ScratchSize: 0
; MemoryBound: 0
; FloatMode: 240
; IeeeMode: 1
; LDSByteSize: 0 bytes/workgroup (compile time only)
; SGPRBlocks: 0
; VGPRBlocks: 0
; NumSGPRsForWavesPerEU: 32
; NumVGPRsForWavesPerEU: 12
; NamedBarCnt: 0
; Occupancy: 16
; WaveLimiterHint : 1
; COMPUTE_PGM_RSRC2:SCRATCH_EN: 0
; COMPUTE_PGM_RSRC2:USER_SGPR: 2
; COMPUTE_PGM_RSRC2:TRAP_HANDLER: 0
; COMPUTE_PGM_RSRC2:TGID_X_EN: 1
; COMPUTE_PGM_RSRC2:TGID_Y_EN: 1
; COMPUTE_PGM_RSRC2:TGID_Z_EN: 1
; COMPUTE_PGM_RSRC2:TIDIG_COMP_CNT: 1
	.section	.text._ZN9rocsolver6v33100L11gemm_kernelIdidPdS2_PKS2_EEvT0_S5_S5_T1_bT2_lS5_S5_lbT3_lS5_S5_lS6_T4_lS5_S5_l,"axG",@progbits,_ZN9rocsolver6v33100L11gemm_kernelIdidPdS2_PKS2_EEvT0_S5_S5_T1_bT2_lS5_S5_lbT3_lS5_S5_lS6_T4_lS5_S5_l,comdat
	.globl	_ZN9rocsolver6v33100L11gemm_kernelIdidPdS2_PKS2_EEvT0_S5_S5_T1_bT2_lS5_S5_lbT3_lS5_S5_lS6_T4_lS5_S5_l ; -- Begin function _ZN9rocsolver6v33100L11gemm_kernelIdidPdS2_PKS2_EEvT0_S5_S5_T1_bT2_lS5_S5_lbT3_lS5_S5_lS6_T4_lS5_S5_l
	.p2align	8
	.type	_ZN9rocsolver6v33100L11gemm_kernelIdidPdS2_PKS2_EEvT0_S5_S5_T1_bT2_lS5_S5_lbT3_lS5_S5_lS6_T4_lS5_S5_l,@function
_ZN9rocsolver6v33100L11gemm_kernelIdidPdS2_PKS2_EEvT0_S5_S5_T1_bT2_lS5_S5_lbT3_lS5_S5_lS6_T4_lS5_S5_l: ; @_ZN9rocsolver6v33100L11gemm_kernelIdidPdS2_PKS2_EEvT0_S5_S5_T1_bT2_lS5_S5_lbT3_lS5_S5_lS6_T4_lS5_S5_l
; %bb.0:
	s_clause 0x1
	s_load_b32 s2, s[0:1], 0x9c
	s_load_b96 s[24:26], s[0:1], 0x0
	s_bfe_u32 s4, ttmp6, 0x4000c
	s_bfe_u32 s6, ttmp6, 0x40010
	s_and_b32 s5, ttmp7, 0xffff
	s_add_co_i32 s4, s4, 1
	s_add_co_i32 s6, s6, 1
	s_and_b32 s3, ttmp6, 15
	s_bfe_u32 s7, ttmp6, 0x40004
	s_mul_i32 s4, ttmp9, s4
	s_mul_i32 s6, s5, s6
	s_getreg_b32 s12, hwreg(HW_REG_IB_STS2, 6, 4)
	v_bfe_u32 v1, v0, 10, 10
	v_and_b32_e32 v0, 0x3ff, v0
	s_add_co_i32 s3, s3, s4
	s_add_co_i32 s7, s7, s6
	s_wait_kmcnt 0x0
	s_and_b32 s4, s2, 0xffff
	s_lshr_b32 s2, s2, 16
	s_cmp_eq_u32 s12, 0
	s_cselect_b32 s3, ttmp9, s3
	s_cselect_b32 s5, s5, s7
	v_mad_u32 v6, s3, s4, v0
	v_mad_u32 v7, s5, s2, v1
	s_mov_b32 s3, 0
	s_delay_alu instid0(VALU_DEP_2) | instskip(NEXT) | instid1(VALU_DEP_2)
	v_cmp_gt_i32_e32 vcc_lo, s24, v6
	v_cmp_gt_i32_e64 s2, s25, v7
	s_and_b32 s2, vcc_lo, s2
	s_delay_alu instid0(SALU_CYCLE_1)
	s_and_saveexec_b32 s4, s2
	s_cbranch_execz .LBB32_6
; %bb.1:
	s_load_b256 s[4:11], s[0:1], 0x60
	s_bfe_u32 s2, ttmp6, 0x40014
	s_lshr_b32 s13, ttmp7, 16
	s_add_co_i32 s2, s2, 1
	s_bfe_u32 s14, ttmp6, 0x40008
	s_mul_i32 s2, s13, s2
	s_delay_alu instid0(SALU_CYCLE_1)
	s_add_co_i32 s14, s14, s2
	s_cmp_eq_u32 s12, 0
	s_cselect_b32 s2, s13, s14
	s_cmp_lt_i32 s26, 1
	s_cbranch_scc1 .LBB32_4
; %bb.2:
	s_clause 0x2
	s_load_b64 s[24:25], s[0:1], 0x58
	s_load_b256 s[12:19], s[0:1], 0x20
	s_load_b128 s[20:23], s[0:1], 0x48
	s_wait_kmcnt 0x0
	s_mul_u64 s[4:5], s[4:5], s[2:3]
	v_mov_b64_e32 v[0:1], 0
	s_lshl_b64 s[4:5], s[4:5], 3
	v_mul_lo_u32 v2, v7, s25
	v_mul_lo_u32 v4, v6, s16
	s_mul_u64 s[18:19], s[18:19], s[2:3]
	s_lshl_b64 s[22:23], s[22:23], 3
	s_lshl_b64 s[14:15], s[14:15], 3
	;; [unrolled: 1-line block ×3, first 2 shown]
	s_add_nc_u64 s[4:5], s[4:5], s[22:23]
	s_add_nc_u64 s[14:15], s[18:19], s[14:15]
	s_add_nc_u64 s[4:5], s[20:21], s[4:5]
	s_add_nc_u64 s[12:13], s[12:13], s[14:15]
	s_ashr_i32 s25, s24, 31
	s_delay_alu instid0(VALU_DEP_1) | instskip(NEXT) | instid1(VALU_DEP_1)
	v_dual_ashrrev_i32 v3, 31, v2 :: v_dual_ashrrev_i32 v5, 31, v4
	v_lshl_add_u64 v[2:3], v[2:3], 3, s[4:5]
	s_delay_alu instid0(VALU_DEP_2)
	v_lshl_add_u64 v[4:5], v[4:5], 3, s[12:13]
	s_ashr_i32 s13, s17, 31
	s_mov_b32 s12, s17
	s_lshl_b64 s[4:5], s[24:25], 3
	s_lshl_b64 s[12:13], s[12:13], 3
.LBB32_3:                               ; =>This Inner Loop Header: Depth=1
	global_load_b64 v[8:9], v[4:5], off
	global_load_b64 v[10:11], v[2:3], off
	s_wait_xcnt 0x0
	v_add_nc_u64_e32 v[2:3], s[4:5], v[2:3]
	v_add_nc_u64_e32 v[4:5], s[12:13], v[4:5]
	s_add_co_i32 s26, s26, -1
	s_delay_alu instid0(SALU_CYCLE_1)
	s_cmp_eq_u32 s26, 0
	s_wait_loadcnt 0x0
	v_fmac_f64_e32 v[0:1], v[8:9], v[10:11]
	s_cbranch_scc0 .LBB32_3
	s_branch .LBB32_5
.LBB32_4:
	v_mov_b64_e32 v[0:1], 0
.LBB32_5:
	s_wait_kmcnt 0x0
	s_load_b64 s[2:3], s[8:9], s2 offset:0x0 scale_offset
	s_nop 0
	s_load_b64 s[4:5], s[0:1], 0x80
	s_wait_kmcnt 0x0
	v_mul_lo_u32 v2, v6, s4
	s_load_b64 s[0:1], s[0:1], 0x10
	s_delay_alu instid0(VALU_DEP_1) | instskip(SKIP_1) | instid1(SALU_CYCLE_1)
	v_mad_u32 v4, v7, s5, v2
	s_lshl_b64 s[4:5], s[10:11], 3
	s_add_nc_u64 s[2:3], s[2:3], s[4:5]
	flat_load_b64 v[2:3], v4, s[2:3] scale_offset
	s_wait_loadcnt_dscnt 0x0
	v_mul_f64_e32 v[2:3], s[6:7], v[2:3]
	s_wait_kmcnt 0x0
	s_delay_alu instid0(VALU_DEP_1)
	v_fmac_f64_e32 v[2:3], s[0:1], v[0:1]
	flat_store_b64 v4, v[2:3], s[2:3] scale_offset
.LBB32_6:
	s_endpgm
	.section	.rodata,"a",@progbits
	.p2align	6, 0x0
	.amdhsa_kernel _ZN9rocsolver6v33100L11gemm_kernelIdidPdS2_PKS2_EEvT0_S5_S5_T1_bT2_lS5_S5_lbT3_lS5_S5_lS6_T4_lS5_S5_l
		.amdhsa_group_segment_fixed_size 0
		.amdhsa_private_segment_fixed_size 0
		.amdhsa_kernarg_size 400
		.amdhsa_user_sgpr_count 2
		.amdhsa_user_sgpr_dispatch_ptr 0
		.amdhsa_user_sgpr_queue_ptr 0
		.amdhsa_user_sgpr_kernarg_segment_ptr 1
		.amdhsa_user_sgpr_dispatch_id 0
		.amdhsa_user_sgpr_kernarg_preload_length 0
		.amdhsa_user_sgpr_kernarg_preload_offset 0
		.amdhsa_user_sgpr_private_segment_size 0
		.amdhsa_wavefront_size32 1
		.amdhsa_uses_dynamic_stack 0
		.amdhsa_enable_private_segment 0
		.amdhsa_system_sgpr_workgroup_id_x 1
		.amdhsa_system_sgpr_workgroup_id_y 1
		.amdhsa_system_sgpr_workgroup_id_z 1
		.amdhsa_system_sgpr_workgroup_info 0
		.amdhsa_system_vgpr_workitem_id 1
		.amdhsa_next_free_vgpr 12
		.amdhsa_next_free_sgpr 27
		.amdhsa_named_barrier_count 0
		.amdhsa_reserve_vcc 1
		.amdhsa_float_round_mode_32 0
		.amdhsa_float_round_mode_16_64 0
		.amdhsa_float_denorm_mode_32 3
		.amdhsa_float_denorm_mode_16_64 3
		.amdhsa_fp16_overflow 0
		.amdhsa_memory_ordered 1
		.amdhsa_forward_progress 1
		.amdhsa_inst_pref_size 5
		.amdhsa_round_robin_scheduling 0
		.amdhsa_exception_fp_ieee_invalid_op 0
		.amdhsa_exception_fp_denorm_src 0
		.amdhsa_exception_fp_ieee_div_zero 0
		.amdhsa_exception_fp_ieee_overflow 0
		.amdhsa_exception_fp_ieee_underflow 0
		.amdhsa_exception_fp_ieee_inexact 0
		.amdhsa_exception_int_div_zero 0
	.end_amdhsa_kernel
	.section	.text._ZN9rocsolver6v33100L11gemm_kernelIdidPdS2_PKS2_EEvT0_S5_S5_T1_bT2_lS5_S5_lbT3_lS5_S5_lS6_T4_lS5_S5_l,"axG",@progbits,_ZN9rocsolver6v33100L11gemm_kernelIdidPdS2_PKS2_EEvT0_S5_S5_T1_bT2_lS5_S5_lbT3_lS5_S5_lS6_T4_lS5_S5_l,comdat
.Lfunc_end32:
	.size	_ZN9rocsolver6v33100L11gemm_kernelIdidPdS2_PKS2_EEvT0_S5_S5_T1_bT2_lS5_S5_lbT3_lS5_S5_lS6_T4_lS5_S5_l, .Lfunc_end32-_ZN9rocsolver6v33100L11gemm_kernelIdidPdS2_PKS2_EEvT0_S5_S5_T1_bT2_lS5_S5_lbT3_lS5_S5_lS6_T4_lS5_S5_l
                                        ; -- End function
	.set _ZN9rocsolver6v33100L11gemm_kernelIdidPdS2_PKS2_EEvT0_S5_S5_T1_bT2_lS5_S5_lbT3_lS5_S5_lS6_T4_lS5_S5_l.num_vgpr, 12
	.set _ZN9rocsolver6v33100L11gemm_kernelIdidPdS2_PKS2_EEvT0_S5_S5_T1_bT2_lS5_S5_lbT3_lS5_S5_lS6_T4_lS5_S5_l.num_agpr, 0
	.set _ZN9rocsolver6v33100L11gemm_kernelIdidPdS2_PKS2_EEvT0_S5_S5_T1_bT2_lS5_S5_lbT3_lS5_S5_lS6_T4_lS5_S5_l.numbered_sgpr, 27
	.set _ZN9rocsolver6v33100L11gemm_kernelIdidPdS2_PKS2_EEvT0_S5_S5_T1_bT2_lS5_S5_lbT3_lS5_S5_lS6_T4_lS5_S5_l.num_named_barrier, 0
	.set _ZN9rocsolver6v33100L11gemm_kernelIdidPdS2_PKS2_EEvT0_S5_S5_T1_bT2_lS5_S5_lbT3_lS5_S5_lS6_T4_lS5_S5_l.private_seg_size, 0
	.set _ZN9rocsolver6v33100L11gemm_kernelIdidPdS2_PKS2_EEvT0_S5_S5_T1_bT2_lS5_S5_lbT3_lS5_S5_lS6_T4_lS5_S5_l.uses_vcc, 1
	.set _ZN9rocsolver6v33100L11gemm_kernelIdidPdS2_PKS2_EEvT0_S5_S5_T1_bT2_lS5_S5_lbT3_lS5_S5_lS6_T4_lS5_S5_l.uses_flat_scratch, 0
	.set _ZN9rocsolver6v33100L11gemm_kernelIdidPdS2_PKS2_EEvT0_S5_S5_T1_bT2_lS5_S5_lbT3_lS5_S5_lS6_T4_lS5_S5_l.has_dyn_sized_stack, 0
	.set _ZN9rocsolver6v33100L11gemm_kernelIdidPdS2_PKS2_EEvT0_S5_S5_T1_bT2_lS5_S5_lbT3_lS5_S5_lS6_T4_lS5_S5_l.has_recursion, 0
	.set _ZN9rocsolver6v33100L11gemm_kernelIdidPdS2_PKS2_EEvT0_S5_S5_T1_bT2_lS5_S5_lbT3_lS5_S5_lS6_T4_lS5_S5_l.has_indirect_call, 0
	.section	.AMDGPU.csdata,"",@progbits
; Kernel info:
; codeLenInByte = 568
; TotalNumSgprs: 29
; NumVgprs: 12
; ScratchSize: 0
; MemoryBound: 0
; FloatMode: 240
; IeeeMode: 1
; LDSByteSize: 0 bytes/workgroup (compile time only)
; SGPRBlocks: 0
; VGPRBlocks: 0
; NumSGPRsForWavesPerEU: 29
; NumVGPRsForWavesPerEU: 12
; NamedBarCnt: 0
; Occupancy: 16
; WaveLimiterHint : 1
; COMPUTE_PGM_RSRC2:SCRATCH_EN: 0
; COMPUTE_PGM_RSRC2:USER_SGPR: 2
; COMPUTE_PGM_RSRC2:TRAP_HANDLER: 0
; COMPUTE_PGM_RSRC2:TGID_X_EN: 1
; COMPUTE_PGM_RSRC2:TGID_Y_EN: 1
; COMPUTE_PGM_RSRC2:TGID_Z_EN: 1
; COMPUTE_PGM_RSRC2:TIDIG_COMP_CNT: 1
	.section	.text._ZN9rocsolver6v33100L16mfma_gemm_kernelIdlPKdPdS4_S4_EEv18rocblas_operation_S5_T0_S6_S6_T1_T2_lS6_S6_lT3_lS6_S6_lS7_T4_lS6_S6_l,"axG",@progbits,_ZN9rocsolver6v33100L16mfma_gemm_kernelIdlPKdPdS4_S4_EEv18rocblas_operation_S5_T0_S6_S6_T1_T2_lS6_S6_lT3_lS6_S6_lS7_T4_lS6_S6_l,comdat
	.globl	_ZN9rocsolver6v33100L16mfma_gemm_kernelIdlPKdPdS4_S4_EEv18rocblas_operation_S5_T0_S6_S6_T1_T2_lS6_S6_lT3_lS6_S6_lS7_T4_lS6_S6_l ; -- Begin function _ZN9rocsolver6v33100L16mfma_gemm_kernelIdlPKdPdS4_S4_EEv18rocblas_operation_S5_T0_S6_S6_T1_T2_lS6_S6_lT3_lS6_S6_lS7_T4_lS6_S6_l
	.p2align	8
	.type	_ZN9rocsolver6v33100L16mfma_gemm_kernelIdlPKdPdS4_S4_EEv18rocblas_operation_S5_T0_S6_S6_T1_T2_lS6_S6_lT3_lS6_S6_lS7_T4_lS6_S6_l,@function
_ZN9rocsolver6v33100L16mfma_gemm_kernelIdlPKdPdS4_S4_EEv18rocblas_operation_S5_T0_S6_S6_T1_T2_lS6_S6_lT3_lS6_S6_lS7_T4_lS6_S6_l: ; @_ZN9rocsolver6v33100L16mfma_gemm_kernelIdlPKdPdS4_S4_EEv18rocblas_operation_S5_T0_S6_S6_T1_T2_lS6_S6_lT3_lS6_S6_lS7_T4_lS6_S6_l
; %bb.0:
	s_endpgm
	.section	.rodata,"a",@progbits
	.p2align	6, 0x0
	.amdhsa_kernel _ZN9rocsolver6v33100L16mfma_gemm_kernelIdlPKdPdS4_S4_EEv18rocblas_operation_S5_T0_S6_S6_T1_T2_lS6_S6_lT3_lS6_S6_lS7_T4_lS6_S6_l
		.amdhsa_group_segment_fixed_size 0
		.amdhsa_private_segment_fixed_size 0
		.amdhsa_kernarg_size 168
		.amdhsa_user_sgpr_count 2
		.amdhsa_user_sgpr_dispatch_ptr 0
		.amdhsa_user_sgpr_queue_ptr 0
		.amdhsa_user_sgpr_kernarg_segment_ptr 1
		.amdhsa_user_sgpr_dispatch_id 0
		.amdhsa_user_sgpr_kernarg_preload_length 0
		.amdhsa_user_sgpr_kernarg_preload_offset 0
		.amdhsa_user_sgpr_private_segment_size 0
		.amdhsa_wavefront_size32 1
		.amdhsa_uses_dynamic_stack 0
		.amdhsa_enable_private_segment 0
		.amdhsa_system_sgpr_workgroup_id_x 1
		.amdhsa_system_sgpr_workgroup_id_y 0
		.amdhsa_system_sgpr_workgroup_id_z 0
		.amdhsa_system_sgpr_workgroup_info 0
		.amdhsa_system_vgpr_workitem_id 0
		.amdhsa_next_free_vgpr 1
		.amdhsa_next_free_sgpr 1
		.amdhsa_named_barrier_count 0
		.amdhsa_reserve_vcc 0
		.amdhsa_float_round_mode_32 0
		.amdhsa_float_round_mode_16_64 0
		.amdhsa_float_denorm_mode_32 3
		.amdhsa_float_denorm_mode_16_64 3
		.amdhsa_fp16_overflow 0
		.amdhsa_memory_ordered 1
		.amdhsa_forward_progress 1
		.amdhsa_inst_pref_size 1
		.amdhsa_round_robin_scheduling 0
		.amdhsa_exception_fp_ieee_invalid_op 0
		.amdhsa_exception_fp_denorm_src 0
		.amdhsa_exception_fp_ieee_div_zero 0
		.amdhsa_exception_fp_ieee_overflow 0
		.amdhsa_exception_fp_ieee_underflow 0
		.amdhsa_exception_fp_ieee_inexact 0
		.amdhsa_exception_int_div_zero 0
	.end_amdhsa_kernel
	.section	.text._ZN9rocsolver6v33100L16mfma_gemm_kernelIdlPKdPdS4_S4_EEv18rocblas_operation_S5_T0_S6_S6_T1_T2_lS6_S6_lT3_lS6_S6_lS7_T4_lS6_S6_l,"axG",@progbits,_ZN9rocsolver6v33100L16mfma_gemm_kernelIdlPKdPdS4_S4_EEv18rocblas_operation_S5_T0_S6_S6_T1_T2_lS6_S6_lT3_lS6_S6_lS7_T4_lS6_S6_l,comdat
.Lfunc_end33:
	.size	_ZN9rocsolver6v33100L16mfma_gemm_kernelIdlPKdPdS4_S4_EEv18rocblas_operation_S5_T0_S6_S6_T1_T2_lS6_S6_lT3_lS6_S6_lS7_T4_lS6_S6_l, .Lfunc_end33-_ZN9rocsolver6v33100L16mfma_gemm_kernelIdlPKdPdS4_S4_EEv18rocblas_operation_S5_T0_S6_S6_T1_T2_lS6_S6_lT3_lS6_S6_lS7_T4_lS6_S6_l
                                        ; -- End function
	.set _ZN9rocsolver6v33100L16mfma_gemm_kernelIdlPKdPdS4_S4_EEv18rocblas_operation_S5_T0_S6_S6_T1_T2_lS6_S6_lT3_lS6_S6_lS7_T4_lS6_S6_l.num_vgpr, 0
	.set _ZN9rocsolver6v33100L16mfma_gemm_kernelIdlPKdPdS4_S4_EEv18rocblas_operation_S5_T0_S6_S6_T1_T2_lS6_S6_lT3_lS6_S6_lS7_T4_lS6_S6_l.num_agpr, 0
	.set _ZN9rocsolver6v33100L16mfma_gemm_kernelIdlPKdPdS4_S4_EEv18rocblas_operation_S5_T0_S6_S6_T1_T2_lS6_S6_lT3_lS6_S6_lS7_T4_lS6_S6_l.numbered_sgpr, 0
	.set _ZN9rocsolver6v33100L16mfma_gemm_kernelIdlPKdPdS4_S4_EEv18rocblas_operation_S5_T0_S6_S6_T1_T2_lS6_S6_lT3_lS6_S6_lS7_T4_lS6_S6_l.num_named_barrier, 0
	.set _ZN9rocsolver6v33100L16mfma_gemm_kernelIdlPKdPdS4_S4_EEv18rocblas_operation_S5_T0_S6_S6_T1_T2_lS6_S6_lT3_lS6_S6_lS7_T4_lS6_S6_l.private_seg_size, 0
	.set _ZN9rocsolver6v33100L16mfma_gemm_kernelIdlPKdPdS4_S4_EEv18rocblas_operation_S5_T0_S6_S6_T1_T2_lS6_S6_lT3_lS6_S6_lS7_T4_lS6_S6_l.uses_vcc, 0
	.set _ZN9rocsolver6v33100L16mfma_gemm_kernelIdlPKdPdS4_S4_EEv18rocblas_operation_S5_T0_S6_S6_T1_T2_lS6_S6_lT3_lS6_S6_lS7_T4_lS6_S6_l.uses_flat_scratch, 0
	.set _ZN9rocsolver6v33100L16mfma_gemm_kernelIdlPKdPdS4_S4_EEv18rocblas_operation_S5_T0_S6_S6_T1_T2_lS6_S6_lT3_lS6_S6_lS7_T4_lS6_S6_l.has_dyn_sized_stack, 0
	.set _ZN9rocsolver6v33100L16mfma_gemm_kernelIdlPKdPdS4_S4_EEv18rocblas_operation_S5_T0_S6_S6_T1_T2_lS6_S6_lT3_lS6_S6_lS7_T4_lS6_S6_l.has_recursion, 0
	.set _ZN9rocsolver6v33100L16mfma_gemm_kernelIdlPKdPdS4_S4_EEv18rocblas_operation_S5_T0_S6_S6_T1_T2_lS6_S6_lT3_lS6_S6_lS7_T4_lS6_S6_l.has_indirect_call, 0
	.section	.AMDGPU.csdata,"",@progbits
; Kernel info:
; codeLenInByte = 4
; TotalNumSgprs: 0
; NumVgprs: 0
; ScratchSize: 0
; MemoryBound: 0
; FloatMode: 240
; IeeeMode: 1
; LDSByteSize: 0 bytes/workgroup (compile time only)
; SGPRBlocks: 0
; VGPRBlocks: 0
; NumSGPRsForWavesPerEU: 1
; NumVGPRsForWavesPerEU: 1
; NamedBarCnt: 0
; Occupancy: 16
; WaveLimiterHint : 0
; COMPUTE_PGM_RSRC2:SCRATCH_EN: 0
; COMPUTE_PGM_RSRC2:USER_SGPR: 2
; COMPUTE_PGM_RSRC2:TRAP_HANDLER: 0
; COMPUTE_PGM_RSRC2:TGID_X_EN: 1
; COMPUTE_PGM_RSRC2:TGID_Y_EN: 0
; COMPUTE_PGM_RSRC2:TGID_Z_EN: 0
; COMPUTE_PGM_RSRC2:TIDIG_COMP_CNT: 0
	.section	.text._ZN9rocsolver6v33100L16mfma_gemm_kernelIdldPdS2_S2_EEv18rocblas_operation_S3_T0_S4_S4_T1_T2_lS4_S4_lT3_lS4_S4_lS5_T4_lS4_S4_l,"axG",@progbits,_ZN9rocsolver6v33100L16mfma_gemm_kernelIdldPdS2_S2_EEv18rocblas_operation_S3_T0_S4_S4_T1_T2_lS4_S4_lT3_lS4_S4_lS5_T4_lS4_S4_l,comdat
	.globl	_ZN9rocsolver6v33100L16mfma_gemm_kernelIdldPdS2_S2_EEv18rocblas_operation_S3_T0_S4_S4_T1_T2_lS4_S4_lT3_lS4_S4_lS5_T4_lS4_S4_l ; -- Begin function _ZN9rocsolver6v33100L16mfma_gemm_kernelIdldPdS2_S2_EEv18rocblas_operation_S3_T0_S4_S4_T1_T2_lS4_S4_lT3_lS4_S4_lS5_T4_lS4_S4_l
	.p2align	8
	.type	_ZN9rocsolver6v33100L16mfma_gemm_kernelIdldPdS2_S2_EEv18rocblas_operation_S3_T0_S4_S4_T1_T2_lS4_S4_lT3_lS4_S4_lS5_T4_lS4_S4_l,@function
_ZN9rocsolver6v33100L16mfma_gemm_kernelIdldPdS2_S2_EEv18rocblas_operation_S3_T0_S4_S4_T1_T2_lS4_S4_lT3_lS4_S4_lS5_T4_lS4_S4_l: ; @_ZN9rocsolver6v33100L16mfma_gemm_kernelIdldPdS2_S2_EEv18rocblas_operation_S3_T0_S4_S4_T1_T2_lS4_S4_lT3_lS4_S4_lS5_T4_lS4_S4_l
; %bb.0:
	s_endpgm
	.section	.rodata,"a",@progbits
	.p2align	6, 0x0
	.amdhsa_kernel _ZN9rocsolver6v33100L16mfma_gemm_kernelIdldPdS2_S2_EEv18rocblas_operation_S3_T0_S4_S4_T1_T2_lS4_S4_lT3_lS4_S4_lS5_T4_lS4_S4_l
		.amdhsa_group_segment_fixed_size 0
		.amdhsa_private_segment_fixed_size 0
		.amdhsa_kernarg_size 168
		.amdhsa_user_sgpr_count 2
		.amdhsa_user_sgpr_dispatch_ptr 0
		.amdhsa_user_sgpr_queue_ptr 0
		.amdhsa_user_sgpr_kernarg_segment_ptr 1
		.amdhsa_user_sgpr_dispatch_id 0
		.amdhsa_user_sgpr_kernarg_preload_length 0
		.amdhsa_user_sgpr_kernarg_preload_offset 0
		.amdhsa_user_sgpr_private_segment_size 0
		.amdhsa_wavefront_size32 1
		.amdhsa_uses_dynamic_stack 0
		.amdhsa_enable_private_segment 0
		.amdhsa_system_sgpr_workgroup_id_x 1
		.amdhsa_system_sgpr_workgroup_id_y 0
		.amdhsa_system_sgpr_workgroup_id_z 0
		.amdhsa_system_sgpr_workgroup_info 0
		.amdhsa_system_vgpr_workitem_id 0
		.amdhsa_next_free_vgpr 1
		.amdhsa_next_free_sgpr 1
		.amdhsa_named_barrier_count 0
		.amdhsa_reserve_vcc 0
		.amdhsa_float_round_mode_32 0
		.amdhsa_float_round_mode_16_64 0
		.amdhsa_float_denorm_mode_32 3
		.amdhsa_float_denorm_mode_16_64 3
		.amdhsa_fp16_overflow 0
		.amdhsa_memory_ordered 1
		.amdhsa_forward_progress 1
		.amdhsa_inst_pref_size 1
		.amdhsa_round_robin_scheduling 0
		.amdhsa_exception_fp_ieee_invalid_op 0
		.amdhsa_exception_fp_denorm_src 0
		.amdhsa_exception_fp_ieee_div_zero 0
		.amdhsa_exception_fp_ieee_overflow 0
		.amdhsa_exception_fp_ieee_underflow 0
		.amdhsa_exception_fp_ieee_inexact 0
		.amdhsa_exception_int_div_zero 0
	.end_amdhsa_kernel
	.section	.text._ZN9rocsolver6v33100L16mfma_gemm_kernelIdldPdS2_S2_EEv18rocblas_operation_S3_T0_S4_S4_T1_T2_lS4_S4_lT3_lS4_S4_lS5_T4_lS4_S4_l,"axG",@progbits,_ZN9rocsolver6v33100L16mfma_gemm_kernelIdldPdS2_S2_EEv18rocblas_operation_S3_T0_S4_S4_T1_T2_lS4_S4_lT3_lS4_S4_lS5_T4_lS4_S4_l,comdat
.Lfunc_end34:
	.size	_ZN9rocsolver6v33100L16mfma_gemm_kernelIdldPdS2_S2_EEv18rocblas_operation_S3_T0_S4_S4_T1_T2_lS4_S4_lT3_lS4_S4_lS5_T4_lS4_S4_l, .Lfunc_end34-_ZN9rocsolver6v33100L16mfma_gemm_kernelIdldPdS2_S2_EEv18rocblas_operation_S3_T0_S4_S4_T1_T2_lS4_S4_lT3_lS4_S4_lS5_T4_lS4_S4_l
                                        ; -- End function
	.set _ZN9rocsolver6v33100L16mfma_gemm_kernelIdldPdS2_S2_EEv18rocblas_operation_S3_T0_S4_S4_T1_T2_lS4_S4_lT3_lS4_S4_lS5_T4_lS4_S4_l.num_vgpr, 0
	.set _ZN9rocsolver6v33100L16mfma_gemm_kernelIdldPdS2_S2_EEv18rocblas_operation_S3_T0_S4_S4_T1_T2_lS4_S4_lT3_lS4_S4_lS5_T4_lS4_S4_l.num_agpr, 0
	.set _ZN9rocsolver6v33100L16mfma_gemm_kernelIdldPdS2_S2_EEv18rocblas_operation_S3_T0_S4_S4_T1_T2_lS4_S4_lT3_lS4_S4_lS5_T4_lS4_S4_l.numbered_sgpr, 0
	.set _ZN9rocsolver6v33100L16mfma_gemm_kernelIdldPdS2_S2_EEv18rocblas_operation_S3_T0_S4_S4_T1_T2_lS4_S4_lT3_lS4_S4_lS5_T4_lS4_S4_l.num_named_barrier, 0
	.set _ZN9rocsolver6v33100L16mfma_gemm_kernelIdldPdS2_S2_EEv18rocblas_operation_S3_T0_S4_S4_T1_T2_lS4_S4_lT3_lS4_S4_lS5_T4_lS4_S4_l.private_seg_size, 0
	.set _ZN9rocsolver6v33100L16mfma_gemm_kernelIdldPdS2_S2_EEv18rocblas_operation_S3_T0_S4_S4_T1_T2_lS4_S4_lT3_lS4_S4_lS5_T4_lS4_S4_l.uses_vcc, 0
	.set _ZN9rocsolver6v33100L16mfma_gemm_kernelIdldPdS2_S2_EEv18rocblas_operation_S3_T0_S4_S4_T1_T2_lS4_S4_lT3_lS4_S4_lS5_T4_lS4_S4_l.uses_flat_scratch, 0
	.set _ZN9rocsolver6v33100L16mfma_gemm_kernelIdldPdS2_S2_EEv18rocblas_operation_S3_T0_S4_S4_T1_T2_lS4_S4_lT3_lS4_S4_lS5_T4_lS4_S4_l.has_dyn_sized_stack, 0
	.set _ZN9rocsolver6v33100L16mfma_gemm_kernelIdldPdS2_S2_EEv18rocblas_operation_S3_T0_S4_S4_T1_T2_lS4_S4_lT3_lS4_S4_lS5_T4_lS4_S4_l.has_recursion, 0
	.set _ZN9rocsolver6v33100L16mfma_gemm_kernelIdldPdS2_S2_EEv18rocblas_operation_S3_T0_S4_S4_T1_T2_lS4_S4_lT3_lS4_S4_lS5_T4_lS4_S4_l.has_indirect_call, 0
	.section	.AMDGPU.csdata,"",@progbits
; Kernel info:
; codeLenInByte = 4
; TotalNumSgprs: 0
; NumVgprs: 0
; ScratchSize: 0
; MemoryBound: 0
; FloatMode: 240
; IeeeMode: 1
; LDSByteSize: 0 bytes/workgroup (compile time only)
; SGPRBlocks: 0
; VGPRBlocks: 0
; NumSGPRsForWavesPerEU: 1
; NumVGPRsForWavesPerEU: 1
; NamedBarCnt: 0
; Occupancy: 16
; WaveLimiterHint : 0
; COMPUTE_PGM_RSRC2:SCRATCH_EN: 0
; COMPUTE_PGM_RSRC2:USER_SGPR: 2
; COMPUTE_PGM_RSRC2:TRAP_HANDLER: 0
; COMPUTE_PGM_RSRC2:TGID_X_EN: 1
; COMPUTE_PGM_RSRC2:TGID_Y_EN: 0
; COMPUTE_PGM_RSRC2:TGID_Z_EN: 0
; COMPUTE_PGM_RSRC2:TIDIG_COMP_CNT: 0
	.section	.text._ZN9rocsolver6v33100L11gemm_kernelIdlPKdPdS4_S4_EEvT0_S5_S5_T1_bT2_lS5_S5_lbT3_lS5_S5_lS6_T4_lS5_S5_l,"axG",@progbits,_ZN9rocsolver6v33100L11gemm_kernelIdlPKdPdS4_S4_EEvT0_S5_S5_T1_bT2_lS5_S5_lbT3_lS5_S5_lS6_T4_lS5_S5_l,comdat
	.globl	_ZN9rocsolver6v33100L11gemm_kernelIdlPKdPdS4_S4_EEvT0_S5_S5_T1_bT2_lS5_S5_lbT3_lS5_S5_lS6_T4_lS5_S5_l ; -- Begin function _ZN9rocsolver6v33100L11gemm_kernelIdlPKdPdS4_S4_EEvT0_S5_S5_T1_bT2_lS5_S5_lbT3_lS5_S5_lS6_T4_lS5_S5_l
	.p2align	8
	.type	_ZN9rocsolver6v33100L11gemm_kernelIdlPKdPdS4_S4_EEvT0_S5_S5_T1_bT2_lS5_S5_lbT3_lS5_S5_lS6_T4_lS5_S5_l,@function
_ZN9rocsolver6v33100L11gemm_kernelIdlPKdPdS4_S4_EEvT0_S5_S5_T1_bT2_lS5_S5_lbT3_lS5_S5_lS6_T4_lS5_S5_l: ; @_ZN9rocsolver6v33100L11gemm_kernelIdlPKdPdS4_S4_EEvT0_S5_S5_T1_bT2_lS5_S5_lbT3_lS5_S5_lS6_T4_lS5_S5_l
; %bb.0:
	s_load_b32 s2, s[0:1], 0xbc
	s_bfe_u32 s4, ttmp6, 0x40010
	s_bfe_u32 s7, ttmp6, 0x4000c
	s_and_b32 s3, ttmp7, 0xffff
	s_add_co_i32 s4, s4, 1
	s_add_co_i32 s7, s7, 1
	s_bfe_u32 s5, ttmp6, 0x40004
	s_and_b32 s6, ttmp6, 15
	s_mul_i32 s4, s3, s4
	s_mul_i32 s7, ttmp9, s7
	s_getreg_b32 s24, hwreg(HW_REG_IB_STS2, 6, 4)
	v_mov_b32_e32 v5, 0
	v_and_b32_e32 v4, 0x3ff, v0
	s_add_co_i32 s5, s5, s4
	s_add_co_i32 s6, s6, s7
	s_load_b256 s[16:23], s[0:1], 0x0
	s_wait_kmcnt 0x0
	s_lshr_b32 s4, s2, 16
	s_and_b32 s2, s2, 0xffff
	s_cmp_eq_u32 s24, 0
	s_cselect_b32 s6, ttmp9, s6
	s_delay_alu instid0(SALU_CYCLE_1) | instskip(SKIP_3) | instid1(VALU_DEP_1)
	v_mad_nc_u64_u32 v[2:3], s2, s6, v[4:5]
	v_bfe_u32 v4, v0, 10, 10
	s_cselect_b32 s2, s3, s5
	s_mov_b32 s3, 0
	v_mad_nc_u64_u32 v[0:1], s4, s2, v[4:5]
	s_delay_alu instid0(VALU_DEP_3) | instskip(NEXT) | instid1(VALU_DEP_2)
	v_cmp_gt_i64_e32 vcc_lo, s[16:17], v[2:3]
	v_cmp_gt_i64_e64 s2, s[18:19], v[0:1]
	s_and_b32 s2, vcc_lo, s2
	s_delay_alu instid0(SALU_CYCLE_1)
	s_and_saveexec_b32 s4, s2
	s_cbranch_execz .LBB35_6
; %bb.1:
	s_load_b512 s[4:19], s[0:1], 0x58
	s_bfe_u32 s2, ttmp6, 0x40014
	s_lshr_b32 s25, ttmp7, 16
	s_add_co_i32 s2, s2, 1
	v_cmp_lt_i64_e64 s26, s[20:21], 1
	s_mul_i32 s2, s25, s2
	s_bfe_u32 s27, ttmp6, 0x40008
	s_delay_alu instid0(SALU_CYCLE_1)
	s_add_co_i32 s27, s27, s2
	s_cmp_eq_u32 s24, 0
	s_cselect_b32 s2, s25, s27
	s_and_b32 vcc_lo, exec_lo, s26
	s_cbranch_vccnz .LBB35_4
; %bb.2:
	s_load_b256 s[24:31], s[0:1], 0x28
	s_wait_kmcnt 0x0
	v_mul_u64_e32 v[8:9], s[10:11], v[0:1]
	s_load_b64 s[10:11], s[0:1], 0x48
	s_mul_u64 s[12:13], s[12:13], s[2:3]
	s_lshl_b64 s[6:7], s[6:7], 3
	s_lshl_b64 s[12:13], s[12:13], 3
	v_mov_b64_e32 v[4:5], 0
	s_add_nc_u64 s[4:5], s[4:5], s[12:13]
	s_delay_alu instid0(SALU_CYCLE_1)
	s_add_nc_u64 s[4:5], s[4:5], s[6:7]
	v_mul_u64_e32 v[6:7], s[28:29], v[2:3]
	s_lshl_b64 s[26:27], s[26:27], 3
	s_wait_kmcnt 0x0
	s_mul_u64 s[10:11], s[10:11], s[2:3]
	s_lshl_b64 s[6:7], s[30:31], 3
	s_lshl_b64 s[10:11], s[10:11], 3
	s_delay_alu instid0(SALU_CYCLE_1) | instskip(NEXT) | instid1(SALU_CYCLE_1)
	s_add_nc_u64 s[10:11], s[24:25], s[10:11]
	s_add_nc_u64 s[10:11], s[10:11], s[26:27]
	s_delay_alu instid0(VALU_DEP_3) | instskip(SKIP_1) | instid1(VALU_DEP_2)
	v_lshl_add_u64 v[8:9], v[8:9], 3, s[4:5]
	s_lshl_b64 s[4:5], s[8:9], 3
	v_lshl_add_u64 v[6:7], v[6:7], 3, s[10:11]
.LBB35_3:                               ; =>This Inner Loop Header: Depth=1
	global_load_b64 v[10:11], v[6:7], off
	global_load_b64 v[12:13], v[8:9], off
	s_wait_xcnt 0x0
	v_add_nc_u64_e32 v[8:9], s[4:5], v[8:9]
	v_add_nc_u64_e32 v[6:7], s[6:7], v[6:7]
	s_add_nc_u64 s[20:21], s[20:21], -1
	s_delay_alu instid0(SALU_CYCLE_1)
	s_cmp_eq_u64 s[20:21], 0
	s_wait_loadcnt 0x0
	v_fmac_f64_e32 v[4:5], v[10:11], v[12:13]
	s_cbranch_scc0 .LBB35_3
	s_branch .LBB35_5
.LBB35_4:
	v_mov_b64_e32 v[4:5], 0
.LBB35_5:
	s_wait_kmcnt 0x0
	s_load_b64 s[4:5], s[22:23], 0x0
	s_load_b64 s[6:7], s[14:15], 0x0
                                        ; kill: killed $sgpr22_sgpr23
                                        ; kill: killed $sgpr14_sgpr15
	s_clause 0x1
	s_load_b128 s[8:11], s[0:1], 0x98
	s_load_b64 s[12:13], s[0:1], 0xa8
	s_wait_kmcnt 0x0
	v_mul_u64_e32 v[2:3], s[8:9], v[2:3]
	v_mul_u64_e32 v[0:1], s[10:11], v[0:1]
	s_mul_u64 s[0:1], s[12:13], s[2:3]
	s_lshl_b64 s[2:3], s[18:19], 3
	s_lshl_b64 s[0:1], s[0:1], 3
	s_delay_alu instid0(SALU_CYCLE_1) | instskip(NEXT) | instid1(SALU_CYCLE_1)
	s_add_nc_u64 s[0:1], s[16:17], s[0:1]
	s_add_nc_u64 s[0:1], s[0:1], s[2:3]
	s_delay_alu instid0(VALU_DEP_2) | instid1(SALU_CYCLE_1)
	v_lshl_add_u64 v[2:3], v[2:3], 3, s[0:1]
	s_delay_alu instid0(VALU_DEP_1) | instskip(SKIP_3) | instid1(VALU_DEP_1)
	v_lshl_add_u64 v[0:1], v[0:1], 3, v[2:3]
	global_load_b64 v[2:3], v[0:1], off
	s_wait_loadcnt 0x0
	v_mul_f64_e32 v[2:3], s[6:7], v[2:3]
	v_fmac_f64_e32 v[2:3], s[4:5], v[4:5]
	global_store_b64 v[0:1], v[2:3], off
.LBB35_6:
	s_endpgm
	.section	.rodata,"a",@progbits
	.p2align	6, 0x0
	.amdhsa_kernel _ZN9rocsolver6v33100L11gemm_kernelIdlPKdPdS4_S4_EEvT0_S5_S5_T1_bT2_lS5_S5_lbT3_lS5_S5_lS6_T4_lS5_S5_l
		.amdhsa_group_segment_fixed_size 0
		.amdhsa_private_segment_fixed_size 0
		.amdhsa_kernarg_size 432
		.amdhsa_user_sgpr_count 2
		.amdhsa_user_sgpr_dispatch_ptr 0
		.amdhsa_user_sgpr_queue_ptr 0
		.amdhsa_user_sgpr_kernarg_segment_ptr 1
		.amdhsa_user_sgpr_dispatch_id 0
		.amdhsa_user_sgpr_kernarg_preload_length 0
		.amdhsa_user_sgpr_kernarg_preload_offset 0
		.amdhsa_user_sgpr_private_segment_size 0
		.amdhsa_wavefront_size32 1
		.amdhsa_uses_dynamic_stack 0
		.amdhsa_enable_private_segment 0
		.amdhsa_system_sgpr_workgroup_id_x 1
		.amdhsa_system_sgpr_workgroup_id_y 1
		.amdhsa_system_sgpr_workgroup_id_z 1
		.amdhsa_system_sgpr_workgroup_info 0
		.amdhsa_system_vgpr_workitem_id 1
		.amdhsa_next_free_vgpr 14
		.amdhsa_next_free_sgpr 32
		.amdhsa_named_barrier_count 0
		.amdhsa_reserve_vcc 1
		.amdhsa_float_round_mode_32 0
		.amdhsa_float_round_mode_16_64 0
		.amdhsa_float_denorm_mode_32 3
		.amdhsa_float_denorm_mode_16_64 3
		.amdhsa_fp16_overflow 0
		.amdhsa_memory_ordered 1
		.amdhsa_forward_progress 1
		.amdhsa_inst_pref_size 5
		.amdhsa_round_robin_scheduling 0
		.amdhsa_exception_fp_ieee_invalid_op 0
		.amdhsa_exception_fp_denorm_src 0
		.amdhsa_exception_fp_ieee_div_zero 0
		.amdhsa_exception_fp_ieee_overflow 0
		.amdhsa_exception_fp_ieee_underflow 0
		.amdhsa_exception_fp_ieee_inexact 0
		.amdhsa_exception_int_div_zero 0
	.end_amdhsa_kernel
	.section	.text._ZN9rocsolver6v33100L11gemm_kernelIdlPKdPdS4_S4_EEvT0_S5_S5_T1_bT2_lS5_S5_lbT3_lS5_S5_lS6_T4_lS5_S5_l,"axG",@progbits,_ZN9rocsolver6v33100L11gemm_kernelIdlPKdPdS4_S4_EEvT0_S5_S5_T1_bT2_lS5_S5_lbT3_lS5_S5_lS6_T4_lS5_S5_l,comdat
.Lfunc_end35:
	.size	_ZN9rocsolver6v33100L11gemm_kernelIdlPKdPdS4_S4_EEvT0_S5_S5_T1_bT2_lS5_S5_lbT3_lS5_S5_lS6_T4_lS5_S5_l, .Lfunc_end35-_ZN9rocsolver6v33100L11gemm_kernelIdlPKdPdS4_S4_EEvT0_S5_S5_T1_bT2_lS5_S5_lbT3_lS5_S5_lS6_T4_lS5_S5_l
                                        ; -- End function
	.set _ZN9rocsolver6v33100L11gemm_kernelIdlPKdPdS4_S4_EEvT0_S5_S5_T1_bT2_lS5_S5_lbT3_lS5_S5_lS6_T4_lS5_S5_l.num_vgpr, 14
	.set _ZN9rocsolver6v33100L11gemm_kernelIdlPKdPdS4_S4_EEvT0_S5_S5_T1_bT2_lS5_S5_lbT3_lS5_S5_lS6_T4_lS5_S5_l.num_agpr, 0
	.set _ZN9rocsolver6v33100L11gemm_kernelIdlPKdPdS4_S4_EEvT0_S5_S5_T1_bT2_lS5_S5_lbT3_lS5_S5_lS6_T4_lS5_S5_l.numbered_sgpr, 32
	.set _ZN9rocsolver6v33100L11gemm_kernelIdlPKdPdS4_S4_EEvT0_S5_S5_T1_bT2_lS5_S5_lbT3_lS5_S5_lS6_T4_lS5_S5_l.num_named_barrier, 0
	.set _ZN9rocsolver6v33100L11gemm_kernelIdlPKdPdS4_S4_EEvT0_S5_S5_T1_bT2_lS5_S5_lbT3_lS5_S5_lS6_T4_lS5_S5_l.private_seg_size, 0
	.set _ZN9rocsolver6v33100L11gemm_kernelIdlPKdPdS4_S4_EEvT0_S5_S5_T1_bT2_lS5_S5_lbT3_lS5_S5_lS6_T4_lS5_S5_l.uses_vcc, 1
	.set _ZN9rocsolver6v33100L11gemm_kernelIdlPKdPdS4_S4_EEvT0_S5_S5_T1_bT2_lS5_S5_lbT3_lS5_S5_lS6_T4_lS5_S5_l.uses_flat_scratch, 0
	.set _ZN9rocsolver6v33100L11gemm_kernelIdlPKdPdS4_S4_EEvT0_S5_S5_T1_bT2_lS5_S5_lbT3_lS5_S5_lS6_T4_lS5_S5_l.has_dyn_sized_stack, 0
	.set _ZN9rocsolver6v33100L11gemm_kernelIdlPKdPdS4_S4_EEvT0_S5_S5_T1_bT2_lS5_S5_lbT3_lS5_S5_lS6_T4_lS5_S5_l.has_recursion, 0
	.set _ZN9rocsolver6v33100L11gemm_kernelIdlPKdPdS4_S4_EEvT0_S5_S5_T1_bT2_lS5_S5_lbT3_lS5_S5_lS6_T4_lS5_S5_l.has_indirect_call, 0
	.section	.AMDGPU.csdata,"",@progbits
; Kernel info:
; codeLenInByte = 572
; TotalNumSgprs: 34
; NumVgprs: 14
; ScratchSize: 0
; MemoryBound: 0
; FloatMode: 240
; IeeeMode: 1
; LDSByteSize: 0 bytes/workgroup (compile time only)
; SGPRBlocks: 0
; VGPRBlocks: 0
; NumSGPRsForWavesPerEU: 34
; NumVGPRsForWavesPerEU: 14
; NamedBarCnt: 0
; Occupancy: 16
; WaveLimiterHint : 0
; COMPUTE_PGM_RSRC2:SCRATCH_EN: 0
; COMPUTE_PGM_RSRC2:USER_SGPR: 2
; COMPUTE_PGM_RSRC2:TRAP_HANDLER: 0
; COMPUTE_PGM_RSRC2:TGID_X_EN: 1
; COMPUTE_PGM_RSRC2:TGID_Y_EN: 1
; COMPUTE_PGM_RSRC2:TGID_Z_EN: 1
; COMPUTE_PGM_RSRC2:TIDIG_COMP_CNT: 1
	.section	.text._ZN9rocsolver6v33100L11gemm_kernelIdldPdS2_S2_EEvT0_S3_S3_T1_bT2_lS3_S3_lbT3_lS3_S3_lS4_T4_lS3_S3_l,"axG",@progbits,_ZN9rocsolver6v33100L11gemm_kernelIdldPdS2_S2_EEvT0_S3_S3_T1_bT2_lS3_S3_lbT3_lS3_S3_lS4_T4_lS3_S3_l,comdat
	.globl	_ZN9rocsolver6v33100L11gemm_kernelIdldPdS2_S2_EEvT0_S3_S3_T1_bT2_lS3_S3_lbT3_lS3_S3_lS4_T4_lS3_S3_l ; -- Begin function _ZN9rocsolver6v33100L11gemm_kernelIdldPdS2_S2_EEvT0_S3_S3_T1_bT2_lS3_S3_lbT3_lS3_S3_lS4_T4_lS3_S3_l
	.p2align	8
	.type	_ZN9rocsolver6v33100L11gemm_kernelIdldPdS2_S2_EEvT0_S3_S3_T1_bT2_lS3_S3_lbT3_lS3_S3_lS4_T4_lS3_S3_l,@function
_ZN9rocsolver6v33100L11gemm_kernelIdldPdS2_S2_EEvT0_S3_S3_T1_bT2_lS3_S3_lbT3_lS3_S3_lS4_T4_lS3_S3_l: ; @_ZN9rocsolver6v33100L11gemm_kernelIdldPdS2_S2_EEvT0_S3_S3_T1_bT2_lS3_S3_lbT3_lS3_S3_lS4_T4_lS3_S3_l
; %bb.0:
	s_load_b32 s2, s[0:1], 0xbc
	s_bfe_u32 s4, ttmp6, 0x40010
	s_bfe_u32 s7, ttmp6, 0x4000c
	s_and_b32 s3, ttmp7, 0xffff
	s_add_co_i32 s4, s4, 1
	s_add_co_i32 s7, s7, 1
	s_bfe_u32 s5, ttmp6, 0x40004
	s_and_b32 s6, ttmp6, 15
	s_mul_i32 s4, s3, s4
	s_mul_i32 s7, ttmp9, s7
	s_getreg_b32 s24, hwreg(HW_REG_IB_STS2, 6, 4)
	v_mov_b32_e32 v5, 0
	v_and_b32_e32 v4, 0x3ff, v0
	s_add_co_i32 s5, s5, s4
	s_add_co_i32 s6, s6, s7
	s_load_b256 s[16:23], s[0:1], 0x0
	s_wait_kmcnt 0x0
	s_lshr_b32 s4, s2, 16
	s_and_b32 s2, s2, 0xffff
	s_cmp_eq_u32 s24, 0
	s_cselect_b32 s6, ttmp9, s6
	s_delay_alu instid0(SALU_CYCLE_1) | instskip(SKIP_3) | instid1(VALU_DEP_1)
	v_mad_nc_u64_u32 v[2:3], s2, s6, v[4:5]
	v_bfe_u32 v4, v0, 10, 10
	s_cselect_b32 s2, s3, s5
	s_mov_b32 s3, 0
	v_mad_nc_u64_u32 v[0:1], s4, s2, v[4:5]
	s_delay_alu instid0(VALU_DEP_3) | instskip(NEXT) | instid1(VALU_DEP_2)
	v_cmp_gt_i64_e32 vcc_lo, s[16:17], v[2:3]
	v_cmp_gt_i64_e64 s2, s[18:19], v[0:1]
	s_and_b32 s2, vcc_lo, s2
	s_delay_alu instid0(SALU_CYCLE_1)
	s_and_saveexec_b32 s4, s2
	s_cbranch_execz .LBB36_6
; %bb.1:
	s_load_b512 s[4:19], s[0:1], 0x58
	s_bfe_u32 s2, ttmp6, 0x40014
	s_lshr_b32 s25, ttmp7, 16
	s_add_co_i32 s2, s2, 1
	v_cmp_lt_i64_e64 s26, s[20:21], 1
	s_mul_i32 s2, s25, s2
	s_bfe_u32 s27, ttmp6, 0x40008
	s_delay_alu instid0(SALU_CYCLE_1)
	s_add_co_i32 s27, s27, s2
	s_cmp_eq_u32 s24, 0
	s_cselect_b32 s2, s25, s27
	s_and_b32 vcc_lo, exec_lo, s26
	s_cbranch_vccnz .LBB36_4
; %bb.2:
	s_load_b256 s[24:31], s[0:1], 0x28
	s_wait_kmcnt 0x0
	v_mul_u64_e32 v[8:9], s[10:11], v[0:1]
	s_load_b64 s[10:11], s[0:1], 0x48
	s_mul_u64 s[12:13], s[12:13], s[2:3]
	s_lshl_b64 s[6:7], s[6:7], 3
	s_lshl_b64 s[12:13], s[12:13], 3
	v_mov_b64_e32 v[4:5], 0
	s_add_nc_u64 s[4:5], s[4:5], s[12:13]
	s_delay_alu instid0(SALU_CYCLE_1)
	s_add_nc_u64 s[4:5], s[4:5], s[6:7]
	v_mul_u64_e32 v[6:7], s[28:29], v[2:3]
	s_lshl_b64 s[26:27], s[26:27], 3
	s_wait_kmcnt 0x0
	s_mul_u64 s[10:11], s[10:11], s[2:3]
	s_lshl_b64 s[6:7], s[30:31], 3
	s_lshl_b64 s[10:11], s[10:11], 3
	s_delay_alu instid0(SALU_CYCLE_1) | instskip(NEXT) | instid1(SALU_CYCLE_1)
	s_add_nc_u64 s[10:11], s[24:25], s[10:11]
	s_add_nc_u64 s[10:11], s[10:11], s[26:27]
	s_delay_alu instid0(VALU_DEP_3) | instskip(SKIP_1) | instid1(VALU_DEP_2)
	v_lshl_add_u64 v[8:9], v[8:9], 3, s[4:5]
	s_lshl_b64 s[4:5], s[8:9], 3
	v_lshl_add_u64 v[6:7], v[6:7], 3, s[10:11]
.LBB36_3:                               ; =>This Inner Loop Header: Depth=1
	global_load_b64 v[10:11], v[6:7], off
	global_load_b64 v[12:13], v[8:9], off
	s_wait_xcnt 0x0
	v_add_nc_u64_e32 v[8:9], s[4:5], v[8:9]
	v_add_nc_u64_e32 v[6:7], s[6:7], v[6:7]
	s_add_nc_u64 s[20:21], s[20:21], -1
	s_delay_alu instid0(SALU_CYCLE_1)
	s_cmp_eq_u64 s[20:21], 0
	s_wait_loadcnt 0x0
	v_fmac_f64_e32 v[4:5], v[10:11], v[12:13]
	s_cbranch_scc0 .LBB36_3
	s_branch .LBB36_5
.LBB36_4:
	v_mov_b64_e32 v[4:5], 0
.LBB36_5:
	s_wait_kmcnt 0x0
	s_clause 0x1
	s_load_b128 s[4:7], s[0:1], 0x98
	s_load_b64 s[8:9], s[0:1], 0xa8
	s_wait_kmcnt 0x0
	v_mul_u64_e32 v[2:3], s[4:5], v[2:3]
	v_mul_u64_e32 v[0:1], s[6:7], v[0:1]
	s_mul_u64 s[0:1], s[8:9], s[2:3]
	s_lshl_b64 s[2:3], s[18:19], 3
	s_lshl_b64 s[0:1], s[0:1], 3
	s_delay_alu instid0(SALU_CYCLE_1) | instskip(NEXT) | instid1(SALU_CYCLE_1)
	s_add_nc_u64 s[0:1], s[16:17], s[0:1]
	s_add_nc_u64 s[0:1], s[0:1], s[2:3]
	s_delay_alu instid0(VALU_DEP_2) | instid1(SALU_CYCLE_1)
	v_lshl_add_u64 v[2:3], v[2:3], 3, s[0:1]
	s_delay_alu instid0(VALU_DEP_1) | instskip(SKIP_3) | instid1(VALU_DEP_1)
	v_lshl_add_u64 v[0:1], v[0:1], 3, v[2:3]
	global_load_b64 v[2:3], v[0:1], off
	s_wait_loadcnt 0x0
	v_mul_f64_e32 v[2:3], s[14:15], v[2:3]
	v_fmac_f64_e32 v[2:3], s[22:23], v[4:5]
	global_store_b64 v[0:1], v[2:3], off
.LBB36_6:
	s_endpgm
	.section	.rodata,"a",@progbits
	.p2align	6, 0x0
	.amdhsa_kernel _ZN9rocsolver6v33100L11gemm_kernelIdldPdS2_S2_EEvT0_S3_S3_T1_bT2_lS3_S3_lbT3_lS3_S3_lS4_T4_lS3_S3_l
		.amdhsa_group_segment_fixed_size 0
		.amdhsa_private_segment_fixed_size 0
		.amdhsa_kernarg_size 432
		.amdhsa_user_sgpr_count 2
		.amdhsa_user_sgpr_dispatch_ptr 0
		.amdhsa_user_sgpr_queue_ptr 0
		.amdhsa_user_sgpr_kernarg_segment_ptr 1
		.amdhsa_user_sgpr_dispatch_id 0
		.amdhsa_user_sgpr_kernarg_preload_length 0
		.amdhsa_user_sgpr_kernarg_preload_offset 0
		.amdhsa_user_sgpr_private_segment_size 0
		.amdhsa_wavefront_size32 1
		.amdhsa_uses_dynamic_stack 0
		.amdhsa_enable_private_segment 0
		.amdhsa_system_sgpr_workgroup_id_x 1
		.amdhsa_system_sgpr_workgroup_id_y 1
		.amdhsa_system_sgpr_workgroup_id_z 1
		.amdhsa_system_sgpr_workgroup_info 0
		.amdhsa_system_vgpr_workitem_id 1
		.amdhsa_next_free_vgpr 14
		.amdhsa_next_free_sgpr 32
		.amdhsa_named_barrier_count 0
		.amdhsa_reserve_vcc 1
		.amdhsa_float_round_mode_32 0
		.amdhsa_float_round_mode_16_64 0
		.amdhsa_float_denorm_mode_32 3
		.amdhsa_float_denorm_mode_16_64 3
		.amdhsa_fp16_overflow 0
		.amdhsa_memory_ordered 1
		.amdhsa_forward_progress 1
		.amdhsa_inst_pref_size 5
		.amdhsa_round_robin_scheduling 0
		.amdhsa_exception_fp_ieee_invalid_op 0
		.amdhsa_exception_fp_denorm_src 0
		.amdhsa_exception_fp_ieee_div_zero 0
		.amdhsa_exception_fp_ieee_overflow 0
		.amdhsa_exception_fp_ieee_underflow 0
		.amdhsa_exception_fp_ieee_inexact 0
		.amdhsa_exception_int_div_zero 0
	.end_amdhsa_kernel
	.section	.text._ZN9rocsolver6v33100L11gemm_kernelIdldPdS2_S2_EEvT0_S3_S3_T1_bT2_lS3_S3_lbT3_lS3_S3_lS4_T4_lS3_S3_l,"axG",@progbits,_ZN9rocsolver6v33100L11gemm_kernelIdldPdS2_S2_EEvT0_S3_S3_T1_bT2_lS3_S3_lbT3_lS3_S3_lS4_T4_lS3_S3_l,comdat
.Lfunc_end36:
	.size	_ZN9rocsolver6v33100L11gemm_kernelIdldPdS2_S2_EEvT0_S3_S3_T1_bT2_lS3_S3_lbT3_lS3_S3_lS4_T4_lS3_S3_l, .Lfunc_end36-_ZN9rocsolver6v33100L11gemm_kernelIdldPdS2_S2_EEvT0_S3_S3_T1_bT2_lS3_S3_lbT3_lS3_S3_lS4_T4_lS3_S3_l
                                        ; -- End function
	.set _ZN9rocsolver6v33100L11gemm_kernelIdldPdS2_S2_EEvT0_S3_S3_T1_bT2_lS3_S3_lbT3_lS3_S3_lS4_T4_lS3_S3_l.num_vgpr, 14
	.set _ZN9rocsolver6v33100L11gemm_kernelIdldPdS2_S2_EEvT0_S3_S3_T1_bT2_lS3_S3_lbT3_lS3_S3_lS4_T4_lS3_S3_l.num_agpr, 0
	.set _ZN9rocsolver6v33100L11gemm_kernelIdldPdS2_S2_EEvT0_S3_S3_T1_bT2_lS3_S3_lbT3_lS3_S3_lS4_T4_lS3_S3_l.numbered_sgpr, 32
	.set _ZN9rocsolver6v33100L11gemm_kernelIdldPdS2_S2_EEvT0_S3_S3_T1_bT2_lS3_S3_lbT3_lS3_S3_lS4_T4_lS3_S3_l.num_named_barrier, 0
	.set _ZN9rocsolver6v33100L11gemm_kernelIdldPdS2_S2_EEvT0_S3_S3_T1_bT2_lS3_S3_lbT3_lS3_S3_lS4_T4_lS3_S3_l.private_seg_size, 0
	.set _ZN9rocsolver6v33100L11gemm_kernelIdldPdS2_S2_EEvT0_S3_S3_T1_bT2_lS3_S3_lbT3_lS3_S3_lS4_T4_lS3_S3_l.uses_vcc, 1
	.set _ZN9rocsolver6v33100L11gemm_kernelIdldPdS2_S2_EEvT0_S3_S3_T1_bT2_lS3_S3_lbT3_lS3_S3_lS4_T4_lS3_S3_l.uses_flat_scratch, 0
	.set _ZN9rocsolver6v33100L11gemm_kernelIdldPdS2_S2_EEvT0_S3_S3_T1_bT2_lS3_S3_lbT3_lS3_S3_lS4_T4_lS3_S3_l.has_dyn_sized_stack, 0
	.set _ZN9rocsolver6v33100L11gemm_kernelIdldPdS2_S2_EEvT0_S3_S3_T1_bT2_lS3_S3_lbT3_lS3_S3_lS4_T4_lS3_S3_l.has_recursion, 0
	.set _ZN9rocsolver6v33100L11gemm_kernelIdldPdS2_S2_EEvT0_S3_S3_T1_bT2_lS3_S3_lbT3_lS3_S3_lS4_T4_lS3_S3_l.has_indirect_call, 0
	.section	.AMDGPU.csdata,"",@progbits
; Kernel info:
; codeLenInByte = 556
; TotalNumSgprs: 34
; NumVgprs: 14
; ScratchSize: 0
; MemoryBound: 0
; FloatMode: 240
; IeeeMode: 1
; LDSByteSize: 0 bytes/workgroup (compile time only)
; SGPRBlocks: 0
; VGPRBlocks: 0
; NumSGPRsForWavesPerEU: 34
; NumVGPRsForWavesPerEU: 14
; NamedBarCnt: 0
; Occupancy: 16
; WaveLimiterHint : 0
; COMPUTE_PGM_RSRC2:SCRATCH_EN: 0
; COMPUTE_PGM_RSRC2:USER_SGPR: 2
; COMPUTE_PGM_RSRC2:TRAP_HANDLER: 0
; COMPUTE_PGM_RSRC2:TGID_X_EN: 1
; COMPUTE_PGM_RSRC2:TGID_Y_EN: 1
; COMPUTE_PGM_RSRC2:TGID_Z_EN: 1
; COMPUTE_PGM_RSRC2:TIDIG_COMP_CNT: 1
	.section	.text._ZN9rocsolver6v33100L16mfma_gemm_kernelIdlPKdPKPdS6_S6_EEv18rocblas_operation_S7_T0_S8_S8_T1_T2_lS8_S8_lT3_lS8_S8_lS9_T4_lS8_S8_l,"axG",@progbits,_ZN9rocsolver6v33100L16mfma_gemm_kernelIdlPKdPKPdS6_S6_EEv18rocblas_operation_S7_T0_S8_S8_T1_T2_lS8_S8_lT3_lS8_S8_lS9_T4_lS8_S8_l,comdat
	.globl	_ZN9rocsolver6v33100L16mfma_gemm_kernelIdlPKdPKPdS6_S6_EEv18rocblas_operation_S7_T0_S8_S8_T1_T2_lS8_S8_lT3_lS8_S8_lS9_T4_lS8_S8_l ; -- Begin function _ZN9rocsolver6v33100L16mfma_gemm_kernelIdlPKdPKPdS6_S6_EEv18rocblas_operation_S7_T0_S8_S8_T1_T2_lS8_S8_lT3_lS8_S8_lS9_T4_lS8_S8_l
	.p2align	8
	.type	_ZN9rocsolver6v33100L16mfma_gemm_kernelIdlPKdPKPdS6_S6_EEv18rocblas_operation_S7_T0_S8_S8_T1_T2_lS8_S8_lT3_lS8_S8_lS9_T4_lS8_S8_l,@function
_ZN9rocsolver6v33100L16mfma_gemm_kernelIdlPKdPKPdS6_S6_EEv18rocblas_operation_S7_T0_S8_S8_T1_T2_lS8_S8_lT3_lS8_S8_lS9_T4_lS8_S8_l: ; @_ZN9rocsolver6v33100L16mfma_gemm_kernelIdlPKdPKPdS6_S6_EEv18rocblas_operation_S7_T0_S8_S8_T1_T2_lS8_S8_lT3_lS8_S8_lS9_T4_lS8_S8_l
; %bb.0:
	s_endpgm
	.section	.rodata,"a",@progbits
	.p2align	6, 0x0
	.amdhsa_kernel _ZN9rocsolver6v33100L16mfma_gemm_kernelIdlPKdPKPdS6_S6_EEv18rocblas_operation_S7_T0_S8_S8_T1_T2_lS8_S8_lT3_lS8_S8_lS9_T4_lS8_S8_l
		.amdhsa_group_segment_fixed_size 0
		.amdhsa_private_segment_fixed_size 0
		.amdhsa_kernarg_size 168
		.amdhsa_user_sgpr_count 2
		.amdhsa_user_sgpr_dispatch_ptr 0
		.amdhsa_user_sgpr_queue_ptr 0
		.amdhsa_user_sgpr_kernarg_segment_ptr 1
		.amdhsa_user_sgpr_dispatch_id 0
		.amdhsa_user_sgpr_kernarg_preload_length 0
		.amdhsa_user_sgpr_kernarg_preload_offset 0
		.amdhsa_user_sgpr_private_segment_size 0
		.amdhsa_wavefront_size32 1
		.amdhsa_uses_dynamic_stack 0
		.amdhsa_enable_private_segment 0
		.amdhsa_system_sgpr_workgroup_id_x 1
		.amdhsa_system_sgpr_workgroup_id_y 0
		.amdhsa_system_sgpr_workgroup_id_z 0
		.amdhsa_system_sgpr_workgroup_info 0
		.amdhsa_system_vgpr_workitem_id 0
		.amdhsa_next_free_vgpr 1
		.amdhsa_next_free_sgpr 1
		.amdhsa_named_barrier_count 0
		.amdhsa_reserve_vcc 0
		.amdhsa_float_round_mode_32 0
		.amdhsa_float_round_mode_16_64 0
		.amdhsa_float_denorm_mode_32 3
		.amdhsa_float_denorm_mode_16_64 3
		.amdhsa_fp16_overflow 0
		.amdhsa_memory_ordered 1
		.amdhsa_forward_progress 1
		.amdhsa_inst_pref_size 1
		.amdhsa_round_robin_scheduling 0
		.amdhsa_exception_fp_ieee_invalid_op 0
		.amdhsa_exception_fp_denorm_src 0
		.amdhsa_exception_fp_ieee_div_zero 0
		.amdhsa_exception_fp_ieee_overflow 0
		.amdhsa_exception_fp_ieee_underflow 0
		.amdhsa_exception_fp_ieee_inexact 0
		.amdhsa_exception_int_div_zero 0
	.end_amdhsa_kernel
	.section	.text._ZN9rocsolver6v33100L16mfma_gemm_kernelIdlPKdPKPdS6_S6_EEv18rocblas_operation_S7_T0_S8_S8_T1_T2_lS8_S8_lT3_lS8_S8_lS9_T4_lS8_S8_l,"axG",@progbits,_ZN9rocsolver6v33100L16mfma_gemm_kernelIdlPKdPKPdS6_S6_EEv18rocblas_operation_S7_T0_S8_S8_T1_T2_lS8_S8_lT3_lS8_S8_lS9_T4_lS8_S8_l,comdat
.Lfunc_end37:
	.size	_ZN9rocsolver6v33100L16mfma_gemm_kernelIdlPKdPKPdS6_S6_EEv18rocblas_operation_S7_T0_S8_S8_T1_T2_lS8_S8_lT3_lS8_S8_lS9_T4_lS8_S8_l, .Lfunc_end37-_ZN9rocsolver6v33100L16mfma_gemm_kernelIdlPKdPKPdS6_S6_EEv18rocblas_operation_S7_T0_S8_S8_T1_T2_lS8_S8_lT3_lS8_S8_lS9_T4_lS8_S8_l
                                        ; -- End function
	.set _ZN9rocsolver6v33100L16mfma_gemm_kernelIdlPKdPKPdS6_S6_EEv18rocblas_operation_S7_T0_S8_S8_T1_T2_lS8_S8_lT3_lS8_S8_lS9_T4_lS8_S8_l.num_vgpr, 0
	.set _ZN9rocsolver6v33100L16mfma_gemm_kernelIdlPKdPKPdS6_S6_EEv18rocblas_operation_S7_T0_S8_S8_T1_T2_lS8_S8_lT3_lS8_S8_lS9_T4_lS8_S8_l.num_agpr, 0
	.set _ZN9rocsolver6v33100L16mfma_gemm_kernelIdlPKdPKPdS6_S6_EEv18rocblas_operation_S7_T0_S8_S8_T1_T2_lS8_S8_lT3_lS8_S8_lS9_T4_lS8_S8_l.numbered_sgpr, 0
	.set _ZN9rocsolver6v33100L16mfma_gemm_kernelIdlPKdPKPdS6_S6_EEv18rocblas_operation_S7_T0_S8_S8_T1_T2_lS8_S8_lT3_lS8_S8_lS9_T4_lS8_S8_l.num_named_barrier, 0
	.set _ZN9rocsolver6v33100L16mfma_gemm_kernelIdlPKdPKPdS6_S6_EEv18rocblas_operation_S7_T0_S8_S8_T1_T2_lS8_S8_lT3_lS8_S8_lS9_T4_lS8_S8_l.private_seg_size, 0
	.set _ZN9rocsolver6v33100L16mfma_gemm_kernelIdlPKdPKPdS6_S6_EEv18rocblas_operation_S7_T0_S8_S8_T1_T2_lS8_S8_lT3_lS8_S8_lS9_T4_lS8_S8_l.uses_vcc, 0
	.set _ZN9rocsolver6v33100L16mfma_gemm_kernelIdlPKdPKPdS6_S6_EEv18rocblas_operation_S7_T0_S8_S8_T1_T2_lS8_S8_lT3_lS8_S8_lS9_T4_lS8_S8_l.uses_flat_scratch, 0
	.set _ZN9rocsolver6v33100L16mfma_gemm_kernelIdlPKdPKPdS6_S6_EEv18rocblas_operation_S7_T0_S8_S8_T1_T2_lS8_S8_lT3_lS8_S8_lS9_T4_lS8_S8_l.has_dyn_sized_stack, 0
	.set _ZN9rocsolver6v33100L16mfma_gemm_kernelIdlPKdPKPdS6_S6_EEv18rocblas_operation_S7_T0_S8_S8_T1_T2_lS8_S8_lT3_lS8_S8_lS9_T4_lS8_S8_l.has_recursion, 0
	.set _ZN9rocsolver6v33100L16mfma_gemm_kernelIdlPKdPKPdS6_S6_EEv18rocblas_operation_S7_T0_S8_S8_T1_T2_lS8_S8_lT3_lS8_S8_lS9_T4_lS8_S8_l.has_indirect_call, 0
	.section	.AMDGPU.csdata,"",@progbits
; Kernel info:
; codeLenInByte = 4
; TotalNumSgprs: 0
; NumVgprs: 0
; ScratchSize: 0
; MemoryBound: 0
; FloatMode: 240
; IeeeMode: 1
; LDSByteSize: 0 bytes/workgroup (compile time only)
; SGPRBlocks: 0
; VGPRBlocks: 0
; NumSGPRsForWavesPerEU: 1
; NumVGPRsForWavesPerEU: 1
; NamedBarCnt: 0
; Occupancy: 16
; WaveLimiterHint : 0
; COMPUTE_PGM_RSRC2:SCRATCH_EN: 0
; COMPUTE_PGM_RSRC2:USER_SGPR: 2
; COMPUTE_PGM_RSRC2:TRAP_HANDLER: 0
; COMPUTE_PGM_RSRC2:TGID_X_EN: 1
; COMPUTE_PGM_RSRC2:TGID_Y_EN: 0
; COMPUTE_PGM_RSRC2:TGID_Z_EN: 0
; COMPUTE_PGM_RSRC2:TIDIG_COMP_CNT: 0
	.section	.text._ZN9rocsolver6v33100L16mfma_gemm_kernelIdldPKPdS4_S4_EEv18rocblas_operation_S5_T0_S6_S6_T1_T2_lS6_S6_lT3_lS6_S6_lS7_T4_lS6_S6_l,"axG",@progbits,_ZN9rocsolver6v33100L16mfma_gemm_kernelIdldPKPdS4_S4_EEv18rocblas_operation_S5_T0_S6_S6_T1_T2_lS6_S6_lT3_lS6_S6_lS7_T4_lS6_S6_l,comdat
	.globl	_ZN9rocsolver6v33100L16mfma_gemm_kernelIdldPKPdS4_S4_EEv18rocblas_operation_S5_T0_S6_S6_T1_T2_lS6_S6_lT3_lS6_S6_lS7_T4_lS6_S6_l ; -- Begin function _ZN9rocsolver6v33100L16mfma_gemm_kernelIdldPKPdS4_S4_EEv18rocblas_operation_S5_T0_S6_S6_T1_T2_lS6_S6_lT3_lS6_S6_lS7_T4_lS6_S6_l
	.p2align	8
	.type	_ZN9rocsolver6v33100L16mfma_gemm_kernelIdldPKPdS4_S4_EEv18rocblas_operation_S5_T0_S6_S6_T1_T2_lS6_S6_lT3_lS6_S6_lS7_T4_lS6_S6_l,@function
_ZN9rocsolver6v33100L16mfma_gemm_kernelIdldPKPdS4_S4_EEv18rocblas_operation_S5_T0_S6_S6_T1_T2_lS6_S6_lT3_lS6_S6_lS7_T4_lS6_S6_l: ; @_ZN9rocsolver6v33100L16mfma_gemm_kernelIdldPKPdS4_S4_EEv18rocblas_operation_S5_T0_S6_S6_T1_T2_lS6_S6_lT3_lS6_S6_lS7_T4_lS6_S6_l
; %bb.0:
	s_endpgm
	.section	.rodata,"a",@progbits
	.p2align	6, 0x0
	.amdhsa_kernel _ZN9rocsolver6v33100L16mfma_gemm_kernelIdldPKPdS4_S4_EEv18rocblas_operation_S5_T0_S6_S6_T1_T2_lS6_S6_lT3_lS6_S6_lS7_T4_lS6_S6_l
		.amdhsa_group_segment_fixed_size 0
		.amdhsa_private_segment_fixed_size 0
		.amdhsa_kernarg_size 168
		.amdhsa_user_sgpr_count 2
		.amdhsa_user_sgpr_dispatch_ptr 0
		.amdhsa_user_sgpr_queue_ptr 0
		.amdhsa_user_sgpr_kernarg_segment_ptr 1
		.amdhsa_user_sgpr_dispatch_id 0
		.amdhsa_user_sgpr_kernarg_preload_length 0
		.amdhsa_user_sgpr_kernarg_preload_offset 0
		.amdhsa_user_sgpr_private_segment_size 0
		.amdhsa_wavefront_size32 1
		.amdhsa_uses_dynamic_stack 0
		.amdhsa_enable_private_segment 0
		.amdhsa_system_sgpr_workgroup_id_x 1
		.amdhsa_system_sgpr_workgroup_id_y 0
		.amdhsa_system_sgpr_workgroup_id_z 0
		.amdhsa_system_sgpr_workgroup_info 0
		.amdhsa_system_vgpr_workitem_id 0
		.amdhsa_next_free_vgpr 1
		.amdhsa_next_free_sgpr 1
		.amdhsa_named_barrier_count 0
		.amdhsa_reserve_vcc 0
		.amdhsa_float_round_mode_32 0
		.amdhsa_float_round_mode_16_64 0
		.amdhsa_float_denorm_mode_32 3
		.amdhsa_float_denorm_mode_16_64 3
		.amdhsa_fp16_overflow 0
		.amdhsa_memory_ordered 1
		.amdhsa_forward_progress 1
		.amdhsa_inst_pref_size 1
		.amdhsa_round_robin_scheduling 0
		.amdhsa_exception_fp_ieee_invalid_op 0
		.amdhsa_exception_fp_denorm_src 0
		.amdhsa_exception_fp_ieee_div_zero 0
		.amdhsa_exception_fp_ieee_overflow 0
		.amdhsa_exception_fp_ieee_underflow 0
		.amdhsa_exception_fp_ieee_inexact 0
		.amdhsa_exception_int_div_zero 0
	.end_amdhsa_kernel
	.section	.text._ZN9rocsolver6v33100L16mfma_gemm_kernelIdldPKPdS4_S4_EEv18rocblas_operation_S5_T0_S6_S6_T1_T2_lS6_S6_lT3_lS6_S6_lS7_T4_lS6_S6_l,"axG",@progbits,_ZN9rocsolver6v33100L16mfma_gemm_kernelIdldPKPdS4_S4_EEv18rocblas_operation_S5_T0_S6_S6_T1_T2_lS6_S6_lT3_lS6_S6_lS7_T4_lS6_S6_l,comdat
.Lfunc_end38:
	.size	_ZN9rocsolver6v33100L16mfma_gemm_kernelIdldPKPdS4_S4_EEv18rocblas_operation_S5_T0_S6_S6_T1_T2_lS6_S6_lT3_lS6_S6_lS7_T4_lS6_S6_l, .Lfunc_end38-_ZN9rocsolver6v33100L16mfma_gemm_kernelIdldPKPdS4_S4_EEv18rocblas_operation_S5_T0_S6_S6_T1_T2_lS6_S6_lT3_lS6_S6_lS7_T4_lS6_S6_l
                                        ; -- End function
	.set _ZN9rocsolver6v33100L16mfma_gemm_kernelIdldPKPdS4_S4_EEv18rocblas_operation_S5_T0_S6_S6_T1_T2_lS6_S6_lT3_lS6_S6_lS7_T4_lS6_S6_l.num_vgpr, 0
	.set _ZN9rocsolver6v33100L16mfma_gemm_kernelIdldPKPdS4_S4_EEv18rocblas_operation_S5_T0_S6_S6_T1_T2_lS6_S6_lT3_lS6_S6_lS7_T4_lS6_S6_l.num_agpr, 0
	.set _ZN9rocsolver6v33100L16mfma_gemm_kernelIdldPKPdS4_S4_EEv18rocblas_operation_S5_T0_S6_S6_T1_T2_lS6_S6_lT3_lS6_S6_lS7_T4_lS6_S6_l.numbered_sgpr, 0
	.set _ZN9rocsolver6v33100L16mfma_gemm_kernelIdldPKPdS4_S4_EEv18rocblas_operation_S5_T0_S6_S6_T1_T2_lS6_S6_lT3_lS6_S6_lS7_T4_lS6_S6_l.num_named_barrier, 0
	.set _ZN9rocsolver6v33100L16mfma_gemm_kernelIdldPKPdS4_S4_EEv18rocblas_operation_S5_T0_S6_S6_T1_T2_lS6_S6_lT3_lS6_S6_lS7_T4_lS6_S6_l.private_seg_size, 0
	.set _ZN9rocsolver6v33100L16mfma_gemm_kernelIdldPKPdS4_S4_EEv18rocblas_operation_S5_T0_S6_S6_T1_T2_lS6_S6_lT3_lS6_S6_lS7_T4_lS6_S6_l.uses_vcc, 0
	.set _ZN9rocsolver6v33100L16mfma_gemm_kernelIdldPKPdS4_S4_EEv18rocblas_operation_S5_T0_S6_S6_T1_T2_lS6_S6_lT3_lS6_S6_lS7_T4_lS6_S6_l.uses_flat_scratch, 0
	.set _ZN9rocsolver6v33100L16mfma_gemm_kernelIdldPKPdS4_S4_EEv18rocblas_operation_S5_T0_S6_S6_T1_T2_lS6_S6_lT3_lS6_S6_lS7_T4_lS6_S6_l.has_dyn_sized_stack, 0
	.set _ZN9rocsolver6v33100L16mfma_gemm_kernelIdldPKPdS4_S4_EEv18rocblas_operation_S5_T0_S6_S6_T1_T2_lS6_S6_lT3_lS6_S6_lS7_T4_lS6_S6_l.has_recursion, 0
	.set _ZN9rocsolver6v33100L16mfma_gemm_kernelIdldPKPdS4_S4_EEv18rocblas_operation_S5_T0_S6_S6_T1_T2_lS6_S6_lT3_lS6_S6_lS7_T4_lS6_S6_l.has_indirect_call, 0
	.section	.AMDGPU.csdata,"",@progbits
; Kernel info:
; codeLenInByte = 4
; TotalNumSgprs: 0
; NumVgprs: 0
; ScratchSize: 0
; MemoryBound: 0
; FloatMode: 240
; IeeeMode: 1
; LDSByteSize: 0 bytes/workgroup (compile time only)
; SGPRBlocks: 0
; VGPRBlocks: 0
; NumSGPRsForWavesPerEU: 1
; NumVGPRsForWavesPerEU: 1
; NamedBarCnt: 0
; Occupancy: 16
; WaveLimiterHint : 0
; COMPUTE_PGM_RSRC2:SCRATCH_EN: 0
; COMPUTE_PGM_RSRC2:USER_SGPR: 2
; COMPUTE_PGM_RSRC2:TRAP_HANDLER: 0
; COMPUTE_PGM_RSRC2:TGID_X_EN: 1
; COMPUTE_PGM_RSRC2:TGID_Y_EN: 0
; COMPUTE_PGM_RSRC2:TGID_Z_EN: 0
; COMPUTE_PGM_RSRC2:TIDIG_COMP_CNT: 0
	.section	.text._ZN9rocsolver6v33100L11gemm_kernelIdlPKdPKPdS6_S6_EEvT0_S7_S7_T1_bT2_lS7_S7_lbT3_lS7_S7_lS8_T4_lS7_S7_l,"axG",@progbits,_ZN9rocsolver6v33100L11gemm_kernelIdlPKdPKPdS6_S6_EEvT0_S7_S7_T1_bT2_lS7_S7_lbT3_lS7_S7_lS8_T4_lS7_S7_l,comdat
	.globl	_ZN9rocsolver6v33100L11gemm_kernelIdlPKdPKPdS6_S6_EEvT0_S7_S7_T1_bT2_lS7_S7_lbT3_lS7_S7_lS8_T4_lS7_S7_l ; -- Begin function _ZN9rocsolver6v33100L11gemm_kernelIdlPKdPKPdS6_S6_EEvT0_S7_S7_T1_bT2_lS7_S7_lbT3_lS7_S7_lS8_T4_lS7_S7_l
	.p2align	8
	.type	_ZN9rocsolver6v33100L11gemm_kernelIdlPKdPKPdS6_S6_EEvT0_S7_S7_T1_bT2_lS7_S7_lbT3_lS7_S7_lS8_T4_lS7_S7_l,@function
_ZN9rocsolver6v33100L11gemm_kernelIdlPKdPKPdS6_S6_EEvT0_S7_S7_T1_bT2_lS7_S7_lbT3_lS7_S7_lS8_T4_lS7_S7_l: ; @_ZN9rocsolver6v33100L11gemm_kernelIdlPKdPKPdS6_S6_EEvT0_S7_S7_T1_bT2_lS7_S7_lbT3_lS7_S7_lS8_T4_lS7_S7_l
; %bb.0:
	s_load_b32 s2, s[0:1], 0xbc
	s_bfe_u32 s12, ttmp6, 0x40010
	s_bfe_u32 s15, ttmp6, 0x4000c
	s_and_b32 s3, ttmp7, 0xffff
	s_add_co_i32 s12, s12, 1
	s_add_co_i32 s15, s15, 1
	s_bfe_u32 s13, ttmp6, 0x40004
	s_and_b32 s14, ttmp6, 15
	s_mul_i32 s12, s3, s12
	s_mul_i32 s15, ttmp9, s15
	s_getreg_b32 s20, hwreg(HW_REG_IB_STS2, 6, 4)
	v_mov_b32_e32 v5, 0
	v_and_b32_e32 v4, 0x3ff, v0
	s_add_co_i32 s13, s13, s12
	s_add_co_i32 s14, s14, s15
	s_load_b256 s[4:11], s[0:1], 0x0
	s_wait_kmcnt 0x0
	s_lshr_b32 s12, s2, 16
	s_and_b32 s2, s2, 0xffff
	s_cmp_eq_u32 s20, 0
	s_cselect_b32 s14, ttmp9, s14
	s_delay_alu instid0(SALU_CYCLE_1)
	v_mad_nc_u64_u32 v[2:3], s2, s14, v[4:5]
	v_bfe_u32 v4, v0, 10, 10
	s_cselect_b32 s2, s3, s13
	s_delay_alu instid0(VALU_DEP_1) | instid1(SALU_CYCLE_1)
	v_mad_nc_u64_u32 v[0:1], s12, s2, v[4:5]
	s_delay_alu instid0(VALU_DEP_3) | instskip(NEXT) | instid1(VALU_DEP_2)
	v_cmp_gt_i64_e32 vcc_lo, s[4:5], v[2:3]
	v_cmp_gt_i64_e64 s2, s[6:7], v[0:1]
	s_and_b32 s2, vcc_lo, s2
	s_delay_alu instid0(SALU_CYCLE_1)
	s_and_saveexec_b32 s3, s2
	s_cbranch_execz .LBB39_6
; %bb.1:
	s_clause 0x1
	s_load_b256 s[12:19], s[0:1], 0x80
	s_load_b64 s[2:3], s[0:1], 0xa0
	s_bfe_u32 s4, ttmp6, 0x40014
	s_lshr_b32 s5, ttmp7, 16
	s_add_co_i32 s4, s4, 1
	v_cmp_lt_i64_e64 s6, s[8:9], 1
	s_mul_i32 s4, s5, s4
	s_bfe_u32 s7, ttmp6, 0x40008
	s_delay_alu instid0(SALU_CYCLE_1)
	s_add_co_i32 s7, s7, s4
	s_cmp_eq_u32 s20, 0
	s_cselect_b32 s20, s5, s7
	s_and_b32 vcc_lo, exec_lo, s6
	s_cbranch_vccnz .LBB39_4
; %bb.2:
	s_clause 0x1
	s_load_b256 s[24:31], s[0:1], 0x28
	s_load_b256 s[36:43], s[0:1], 0x58
	v_mov_b64_e32 v[4:5], 0
	s_wait_kmcnt 0x0
	s_load_b64 s[0:1], s[24:25], s20 offset:0x0 scale_offset
	s_load_b64 s[4:5], s[36:37], s20 offset:0x0 scale_offset
	v_mul_u64_e32 v[6:7], s[28:29], v[2:3]
	v_mul_u64_e32 v[8:9], s[42:43], v[0:1]
	s_lshl_b64 s[6:7], s[26:27], 3
	s_lshl_b64 s[22:23], s[38:39], 3
	s_wait_kmcnt 0x0
	s_add_nc_u64 s[0:1], s[0:1], s[6:7]
	s_add_nc_u64 s[4:5], s[4:5], s[22:23]
	s_delay_alu instid0(VALU_DEP_2) | instskip(NEXT) | instid1(VALU_DEP_2)
	v_lshl_add_u64 v[6:7], v[6:7], 3, s[0:1]
	v_lshl_add_u64 v[8:9], v[8:9], 3, s[4:5]
	s_lshl_b64 s[0:1], s[40:41], 3
	s_lshl_b64 s[4:5], s[30:31], 3
.LBB39_3:                               ; =>This Inner Loop Header: Depth=1
	flat_load_b64 v[10:11], v[6:7]
	flat_load_b64 v[12:13], v[8:9]
	s_wait_xcnt 0x0
	v_add_nc_u64_e32 v[8:9], s[0:1], v[8:9]
	v_add_nc_u64_e32 v[6:7], s[4:5], v[6:7]
	s_add_nc_u64 s[8:9], s[8:9], -1
	s_delay_alu instid0(SALU_CYCLE_1)
	s_cmp_eq_u64 s[8:9], 0
	s_wait_loadcnt_dscnt 0x0
	v_fmac_f64_e32 v[4:5], v[10:11], v[12:13]
	s_cbranch_scc0 .LBB39_3
	s_branch .LBB39_5
.LBB39_4:
	v_mov_b64_e32 v[4:5], 0
.LBB39_5:
	s_wait_kmcnt 0x0
	v_mul_u64_e32 v[2:3], s[18:19], v[2:3]
	v_mul_u64_e32 v[0:1], s[2:3], v[0:1]
	s_load_b64 s[0:1], s[10:11], 0x0
	s_load_b64 s[4:5], s[12:13], 0x0
	s_load_b64 s[6:7], s[14:15], s20 offset:0x0 scale_offset
	s_lshl_b64 s[2:3], s[16:17], 3
	s_wait_kmcnt 0x0
	s_add_nc_u64 s[2:3], s[6:7], s[2:3]
	s_delay_alu instid0(VALU_DEP_2) | instid1(SALU_CYCLE_1)
	v_lshl_add_u64 v[2:3], v[2:3], 3, s[2:3]
	s_delay_alu instid0(VALU_DEP_1) | instskip(SKIP_3) | instid1(VALU_DEP_1)
	v_lshl_add_u64 v[0:1], v[0:1], 3, v[2:3]
	flat_load_b64 v[2:3], v[0:1]
	s_wait_loadcnt_dscnt 0x0
	v_mul_f64_e32 v[2:3], s[4:5], v[2:3]
	v_fmac_f64_e32 v[2:3], s[0:1], v[4:5]
	flat_store_b64 v[0:1], v[2:3]
.LBB39_6:
	s_endpgm
	.section	.rodata,"a",@progbits
	.p2align	6, 0x0
	.amdhsa_kernel _ZN9rocsolver6v33100L11gemm_kernelIdlPKdPKPdS6_S6_EEvT0_S7_S7_T1_bT2_lS7_S7_lbT3_lS7_S7_lS8_T4_lS7_S7_l
		.amdhsa_group_segment_fixed_size 0
		.amdhsa_private_segment_fixed_size 0
		.amdhsa_kernarg_size 432
		.amdhsa_user_sgpr_count 2
		.amdhsa_user_sgpr_dispatch_ptr 0
		.amdhsa_user_sgpr_queue_ptr 0
		.amdhsa_user_sgpr_kernarg_segment_ptr 1
		.amdhsa_user_sgpr_dispatch_id 0
		.amdhsa_user_sgpr_kernarg_preload_length 0
		.amdhsa_user_sgpr_kernarg_preload_offset 0
		.amdhsa_user_sgpr_private_segment_size 0
		.amdhsa_wavefront_size32 1
		.amdhsa_uses_dynamic_stack 0
		.amdhsa_enable_private_segment 0
		.amdhsa_system_sgpr_workgroup_id_x 1
		.amdhsa_system_sgpr_workgroup_id_y 1
		.amdhsa_system_sgpr_workgroup_id_z 1
		.amdhsa_system_sgpr_workgroup_info 0
		.amdhsa_system_vgpr_workitem_id 1
		.amdhsa_next_free_vgpr 14
		.amdhsa_next_free_sgpr 44
		.amdhsa_named_barrier_count 0
		.amdhsa_reserve_vcc 1
		.amdhsa_float_round_mode_32 0
		.amdhsa_float_round_mode_16_64 0
		.amdhsa_float_denorm_mode_32 3
		.amdhsa_float_denorm_mode_16_64 3
		.amdhsa_fp16_overflow 0
		.amdhsa_memory_ordered 1
		.amdhsa_forward_progress 1
		.amdhsa_inst_pref_size 5
		.amdhsa_round_robin_scheduling 0
		.amdhsa_exception_fp_ieee_invalid_op 0
		.amdhsa_exception_fp_denorm_src 0
		.amdhsa_exception_fp_ieee_div_zero 0
		.amdhsa_exception_fp_ieee_overflow 0
		.amdhsa_exception_fp_ieee_underflow 0
		.amdhsa_exception_fp_ieee_inexact 0
		.amdhsa_exception_int_div_zero 0
	.end_amdhsa_kernel
	.section	.text._ZN9rocsolver6v33100L11gemm_kernelIdlPKdPKPdS6_S6_EEvT0_S7_S7_T1_bT2_lS7_S7_lbT3_lS7_S7_lS8_T4_lS7_S7_l,"axG",@progbits,_ZN9rocsolver6v33100L11gemm_kernelIdlPKdPKPdS6_S6_EEvT0_S7_S7_T1_bT2_lS7_S7_lbT3_lS7_S7_lS8_T4_lS7_S7_l,comdat
.Lfunc_end39:
	.size	_ZN9rocsolver6v33100L11gemm_kernelIdlPKdPKPdS6_S6_EEvT0_S7_S7_T1_bT2_lS7_S7_lbT3_lS7_S7_lS8_T4_lS7_S7_l, .Lfunc_end39-_ZN9rocsolver6v33100L11gemm_kernelIdlPKdPKPdS6_S6_EEvT0_S7_S7_T1_bT2_lS7_S7_lbT3_lS7_S7_lS8_T4_lS7_S7_l
                                        ; -- End function
	.set _ZN9rocsolver6v33100L11gemm_kernelIdlPKdPKPdS6_S6_EEvT0_S7_S7_T1_bT2_lS7_S7_lbT3_lS7_S7_lS8_T4_lS7_S7_l.num_vgpr, 14
	.set _ZN9rocsolver6v33100L11gemm_kernelIdlPKdPKPdS6_S6_EEvT0_S7_S7_T1_bT2_lS7_S7_lbT3_lS7_S7_lS8_T4_lS7_S7_l.num_agpr, 0
	.set _ZN9rocsolver6v33100L11gemm_kernelIdlPKdPKPdS6_S6_EEvT0_S7_S7_T1_bT2_lS7_S7_lbT3_lS7_S7_lS8_T4_lS7_S7_l.numbered_sgpr, 44
	.set _ZN9rocsolver6v33100L11gemm_kernelIdlPKdPKPdS6_S6_EEvT0_S7_S7_T1_bT2_lS7_S7_lbT3_lS7_S7_lS8_T4_lS7_S7_l.num_named_barrier, 0
	.set _ZN9rocsolver6v33100L11gemm_kernelIdlPKdPKPdS6_S6_EEvT0_S7_S7_T1_bT2_lS7_S7_lbT3_lS7_S7_lS8_T4_lS7_S7_l.private_seg_size, 0
	.set _ZN9rocsolver6v33100L11gemm_kernelIdlPKdPKPdS6_S6_EEvT0_S7_S7_T1_bT2_lS7_S7_lbT3_lS7_S7_lS8_T4_lS7_S7_l.uses_vcc, 1
	.set _ZN9rocsolver6v33100L11gemm_kernelIdlPKdPKPdS6_S6_EEvT0_S7_S7_T1_bT2_lS7_S7_lbT3_lS7_S7_lS8_T4_lS7_S7_l.uses_flat_scratch, 0
	.set _ZN9rocsolver6v33100L11gemm_kernelIdlPKdPKPdS6_S6_EEvT0_S7_S7_T1_bT2_lS7_S7_lbT3_lS7_S7_lS8_T4_lS7_S7_l.has_dyn_sized_stack, 0
	.set _ZN9rocsolver6v33100L11gemm_kernelIdlPKdPKPdS6_S6_EEvT0_S7_S7_T1_bT2_lS7_S7_lbT3_lS7_S7_lS8_T4_lS7_S7_l.has_recursion, 0
	.set _ZN9rocsolver6v33100L11gemm_kernelIdlPKdPKPdS6_S6_EEvT0_S7_S7_T1_bT2_lS7_S7_lbT3_lS7_S7_lS8_T4_lS7_S7_l.has_indirect_call, 0
	.section	.AMDGPU.csdata,"",@progbits
; Kernel info:
; codeLenInByte = 544
; TotalNumSgprs: 46
; NumVgprs: 14
; ScratchSize: 0
; MemoryBound: 0
; FloatMode: 240
; IeeeMode: 1
; LDSByteSize: 0 bytes/workgroup (compile time only)
; SGPRBlocks: 0
; VGPRBlocks: 0
; NumSGPRsForWavesPerEU: 46
; NumVGPRsForWavesPerEU: 14
; NamedBarCnt: 0
; Occupancy: 16
; WaveLimiterHint : 1
; COMPUTE_PGM_RSRC2:SCRATCH_EN: 0
; COMPUTE_PGM_RSRC2:USER_SGPR: 2
; COMPUTE_PGM_RSRC2:TRAP_HANDLER: 0
; COMPUTE_PGM_RSRC2:TGID_X_EN: 1
; COMPUTE_PGM_RSRC2:TGID_Y_EN: 1
; COMPUTE_PGM_RSRC2:TGID_Z_EN: 1
; COMPUTE_PGM_RSRC2:TIDIG_COMP_CNT: 1
	.section	.text._ZN9rocsolver6v33100L11gemm_kernelIdldPKPdS4_S4_EEvT0_S5_S5_T1_bT2_lS5_S5_lbT3_lS5_S5_lS6_T4_lS5_S5_l,"axG",@progbits,_ZN9rocsolver6v33100L11gemm_kernelIdldPKPdS4_S4_EEvT0_S5_S5_T1_bT2_lS5_S5_lbT3_lS5_S5_lS6_T4_lS5_S5_l,comdat
	.globl	_ZN9rocsolver6v33100L11gemm_kernelIdldPKPdS4_S4_EEvT0_S5_S5_T1_bT2_lS5_S5_lbT3_lS5_S5_lS6_T4_lS5_S5_l ; -- Begin function _ZN9rocsolver6v33100L11gemm_kernelIdldPKPdS4_S4_EEvT0_S5_S5_T1_bT2_lS5_S5_lbT3_lS5_S5_lS6_T4_lS5_S5_l
	.p2align	8
	.type	_ZN9rocsolver6v33100L11gemm_kernelIdldPKPdS4_S4_EEvT0_S5_S5_T1_bT2_lS5_S5_lbT3_lS5_S5_lS6_T4_lS5_S5_l,@function
_ZN9rocsolver6v33100L11gemm_kernelIdldPKPdS4_S4_EEvT0_S5_S5_T1_bT2_lS5_S5_lbT3_lS5_S5_lS6_T4_lS5_S5_l: ; @_ZN9rocsolver6v33100L11gemm_kernelIdldPKPdS4_S4_EEvT0_S5_S5_T1_bT2_lS5_S5_lbT3_lS5_S5_lS6_T4_lS5_S5_l
; %bb.0:
	s_load_b32 s2, s[0:1], 0xbc
	s_bfe_u32 s12, ttmp6, 0x40010
	s_bfe_u32 s15, ttmp6, 0x4000c
	s_and_b32 s3, ttmp7, 0xffff
	s_add_co_i32 s12, s12, 1
	s_add_co_i32 s15, s15, 1
	s_bfe_u32 s13, ttmp6, 0x40004
	s_and_b32 s14, ttmp6, 15
	s_mul_i32 s12, s3, s12
	s_mul_i32 s15, ttmp9, s15
	s_getreg_b32 s20, hwreg(HW_REG_IB_STS2, 6, 4)
	v_mov_b32_e32 v5, 0
	v_and_b32_e32 v4, 0x3ff, v0
	s_add_co_i32 s13, s13, s12
	s_add_co_i32 s14, s14, s15
	s_load_b256 s[4:11], s[0:1], 0x0
	s_wait_kmcnt 0x0
	s_lshr_b32 s12, s2, 16
	s_and_b32 s2, s2, 0xffff
	s_cmp_eq_u32 s20, 0
	s_cselect_b32 s14, ttmp9, s14
	s_delay_alu instid0(SALU_CYCLE_1)
	v_mad_nc_u64_u32 v[2:3], s2, s14, v[4:5]
	v_bfe_u32 v4, v0, 10, 10
	s_cselect_b32 s2, s3, s13
	s_delay_alu instid0(VALU_DEP_1) | instid1(SALU_CYCLE_1)
	v_mad_nc_u64_u32 v[0:1], s12, s2, v[4:5]
	s_delay_alu instid0(VALU_DEP_3) | instskip(NEXT) | instid1(VALU_DEP_2)
	v_cmp_gt_i64_e32 vcc_lo, s[4:5], v[2:3]
	v_cmp_gt_i64_e64 s2, s[6:7], v[0:1]
	s_and_b32 s2, vcc_lo, s2
	s_delay_alu instid0(SALU_CYCLE_1)
	s_and_saveexec_b32 s3, s2
	s_cbranch_execz .LBB40_6
; %bb.1:
	s_clause 0x1
	s_load_b256 s[12:19], s[0:1], 0x80
	s_load_b64 s[2:3], s[0:1], 0xa0
	s_bfe_u32 s4, ttmp6, 0x40014
	s_lshr_b32 s5, ttmp7, 16
	s_add_co_i32 s4, s4, 1
	v_cmp_lt_i64_e64 s7, s[8:9], 1
	s_mul_i32 s4, s5, s4
	s_bfe_u32 s6, ttmp6, 0x40008
	s_delay_alu instid0(SALU_CYCLE_1)
	s_add_co_i32 s6, s6, s4
	s_cmp_eq_u32 s20, 0
	s_cselect_b32 s6, s5, s6
	s_and_b32 vcc_lo, exec_lo, s7
	s_cbranch_vccnz .LBB40_4
; %bb.2:
	s_clause 0x1
	s_load_b256 s[20:27], s[0:1], 0x28
	s_load_b256 s[36:43], s[0:1], 0x58
	v_mov_b64_e32 v[4:5], 0
	s_wait_kmcnt 0x0
	s_load_b64 s[0:1], s[20:21], s6 offset:0x0 scale_offset
	s_load_b64 s[4:5], s[36:37], s6 offset:0x0 scale_offset
	v_mul_u64_e32 v[6:7], s[24:25], v[2:3]
	v_mul_u64_e32 v[8:9], s[42:43], v[0:1]
	s_wait_xcnt 0x0
	s_lshl_b64 s[20:21], s[22:23], 3
	s_lshl_b64 s[22:23], s[38:39], 3
	s_wait_kmcnt 0x0
	s_add_nc_u64 s[0:1], s[0:1], s[20:21]
	s_add_nc_u64 s[4:5], s[4:5], s[22:23]
	s_delay_alu instid0(VALU_DEP_2) | instskip(NEXT) | instid1(VALU_DEP_2)
	v_lshl_add_u64 v[6:7], v[6:7], 3, s[0:1]
	v_lshl_add_u64 v[8:9], v[8:9], 3, s[4:5]
	s_lshl_b64 s[0:1], s[40:41], 3
	s_lshl_b64 s[4:5], s[26:27], 3
.LBB40_3:                               ; =>This Inner Loop Header: Depth=1
	flat_load_b64 v[10:11], v[6:7]
	flat_load_b64 v[12:13], v[8:9]
	s_wait_xcnt 0x0
	v_add_nc_u64_e32 v[8:9], s[0:1], v[8:9]
	v_add_nc_u64_e32 v[6:7], s[4:5], v[6:7]
	s_add_nc_u64 s[8:9], s[8:9], -1
	s_delay_alu instid0(SALU_CYCLE_1)
	s_cmp_eq_u64 s[8:9], 0
	s_wait_loadcnt_dscnt 0x0
	v_fmac_f64_e32 v[4:5], v[10:11], v[12:13]
	s_cbranch_scc0 .LBB40_3
	s_branch .LBB40_5
.LBB40_4:
	v_mov_b64_e32 v[4:5], 0
.LBB40_5:
	s_wait_kmcnt 0x0
	v_mul_u64_e32 v[2:3], s[18:19], v[2:3]
	v_mul_u64_e32 v[0:1], s[2:3], v[0:1]
	s_load_b64 s[0:1], s[14:15], s6 offset:0x0 scale_offset
	s_lshl_b64 s[2:3], s[16:17], 3
	s_wait_kmcnt 0x0
	s_add_nc_u64 s[0:1], s[0:1], s[2:3]
	s_delay_alu instid0(VALU_DEP_2) | instid1(SALU_CYCLE_1)
	v_lshl_add_u64 v[2:3], v[2:3], 3, s[0:1]
	s_delay_alu instid0(VALU_DEP_1) | instskip(SKIP_3) | instid1(VALU_DEP_1)
	v_lshl_add_u64 v[0:1], v[0:1], 3, v[2:3]
	flat_load_b64 v[2:3], v[0:1]
	s_wait_loadcnt_dscnt 0x0
	v_mul_f64_e32 v[2:3], s[12:13], v[2:3]
	v_fmac_f64_e32 v[2:3], s[10:11], v[4:5]
	flat_store_b64 v[0:1], v[2:3]
.LBB40_6:
	s_endpgm
	.section	.rodata,"a",@progbits
	.p2align	6, 0x0
	.amdhsa_kernel _ZN9rocsolver6v33100L11gemm_kernelIdldPKPdS4_S4_EEvT0_S5_S5_T1_bT2_lS5_S5_lbT3_lS5_S5_lS6_T4_lS5_S5_l
		.amdhsa_group_segment_fixed_size 0
		.amdhsa_private_segment_fixed_size 0
		.amdhsa_kernarg_size 432
		.amdhsa_user_sgpr_count 2
		.amdhsa_user_sgpr_dispatch_ptr 0
		.amdhsa_user_sgpr_queue_ptr 0
		.amdhsa_user_sgpr_kernarg_segment_ptr 1
		.amdhsa_user_sgpr_dispatch_id 0
		.amdhsa_user_sgpr_kernarg_preload_length 0
		.amdhsa_user_sgpr_kernarg_preload_offset 0
		.amdhsa_user_sgpr_private_segment_size 0
		.amdhsa_wavefront_size32 1
		.amdhsa_uses_dynamic_stack 0
		.amdhsa_enable_private_segment 0
		.amdhsa_system_sgpr_workgroup_id_x 1
		.amdhsa_system_sgpr_workgroup_id_y 1
		.amdhsa_system_sgpr_workgroup_id_z 1
		.amdhsa_system_sgpr_workgroup_info 0
		.amdhsa_system_vgpr_workitem_id 1
		.amdhsa_next_free_vgpr 14
		.amdhsa_next_free_sgpr 44
		.amdhsa_named_barrier_count 0
		.amdhsa_reserve_vcc 1
		.amdhsa_float_round_mode_32 0
		.amdhsa_float_round_mode_16_64 0
		.amdhsa_float_denorm_mode_32 3
		.amdhsa_float_denorm_mode_16_64 3
		.amdhsa_fp16_overflow 0
		.amdhsa_memory_ordered 1
		.amdhsa_forward_progress 1
		.amdhsa_inst_pref_size 5
		.amdhsa_round_robin_scheduling 0
		.amdhsa_exception_fp_ieee_invalid_op 0
		.amdhsa_exception_fp_denorm_src 0
		.amdhsa_exception_fp_ieee_div_zero 0
		.amdhsa_exception_fp_ieee_overflow 0
		.amdhsa_exception_fp_ieee_underflow 0
		.amdhsa_exception_fp_ieee_inexact 0
		.amdhsa_exception_int_div_zero 0
	.end_amdhsa_kernel
	.section	.text._ZN9rocsolver6v33100L11gemm_kernelIdldPKPdS4_S4_EEvT0_S5_S5_T1_bT2_lS5_S5_lbT3_lS5_S5_lS6_T4_lS5_S5_l,"axG",@progbits,_ZN9rocsolver6v33100L11gemm_kernelIdldPKPdS4_S4_EEvT0_S5_S5_T1_bT2_lS5_S5_lbT3_lS5_S5_lS6_T4_lS5_S5_l,comdat
.Lfunc_end40:
	.size	_ZN9rocsolver6v33100L11gemm_kernelIdldPKPdS4_S4_EEvT0_S5_S5_T1_bT2_lS5_S5_lbT3_lS5_S5_lS6_T4_lS5_S5_l, .Lfunc_end40-_ZN9rocsolver6v33100L11gemm_kernelIdldPKPdS4_S4_EEvT0_S5_S5_T1_bT2_lS5_S5_lbT3_lS5_S5_lS6_T4_lS5_S5_l
                                        ; -- End function
	.set _ZN9rocsolver6v33100L11gemm_kernelIdldPKPdS4_S4_EEvT0_S5_S5_T1_bT2_lS5_S5_lbT3_lS5_S5_lS6_T4_lS5_S5_l.num_vgpr, 14
	.set _ZN9rocsolver6v33100L11gemm_kernelIdldPKPdS4_S4_EEvT0_S5_S5_T1_bT2_lS5_S5_lbT3_lS5_S5_lS6_T4_lS5_S5_l.num_agpr, 0
	.set _ZN9rocsolver6v33100L11gemm_kernelIdldPKPdS4_S4_EEvT0_S5_S5_T1_bT2_lS5_S5_lbT3_lS5_S5_lS6_T4_lS5_S5_l.numbered_sgpr, 44
	.set _ZN9rocsolver6v33100L11gemm_kernelIdldPKPdS4_S4_EEvT0_S5_S5_T1_bT2_lS5_S5_lbT3_lS5_S5_lS6_T4_lS5_S5_l.num_named_barrier, 0
	.set _ZN9rocsolver6v33100L11gemm_kernelIdldPKPdS4_S4_EEvT0_S5_S5_T1_bT2_lS5_S5_lbT3_lS5_S5_lS6_T4_lS5_S5_l.private_seg_size, 0
	.set _ZN9rocsolver6v33100L11gemm_kernelIdldPKPdS4_S4_EEvT0_S5_S5_T1_bT2_lS5_S5_lbT3_lS5_S5_lS6_T4_lS5_S5_l.uses_vcc, 1
	.set _ZN9rocsolver6v33100L11gemm_kernelIdldPKPdS4_S4_EEvT0_S5_S5_T1_bT2_lS5_S5_lbT3_lS5_S5_lS6_T4_lS5_S5_l.uses_flat_scratch, 0
	.set _ZN9rocsolver6v33100L11gemm_kernelIdldPKPdS4_S4_EEvT0_S5_S5_T1_bT2_lS5_S5_lbT3_lS5_S5_lS6_T4_lS5_S5_l.has_dyn_sized_stack, 0
	.set _ZN9rocsolver6v33100L11gemm_kernelIdldPKPdS4_S4_EEvT0_S5_S5_T1_bT2_lS5_S5_lbT3_lS5_S5_lS6_T4_lS5_S5_l.has_recursion, 0
	.set _ZN9rocsolver6v33100L11gemm_kernelIdldPKPdS4_S4_EEvT0_S5_S5_T1_bT2_lS5_S5_lbT3_lS5_S5_lS6_T4_lS5_S5_l.has_indirect_call, 0
	.section	.AMDGPU.csdata,"",@progbits
; Kernel info:
; codeLenInByte = 532
; TotalNumSgprs: 46
; NumVgprs: 14
; ScratchSize: 0
; MemoryBound: 0
; FloatMode: 240
; IeeeMode: 1
; LDSByteSize: 0 bytes/workgroup (compile time only)
; SGPRBlocks: 0
; VGPRBlocks: 0
; NumSGPRsForWavesPerEU: 46
; NumVGPRsForWavesPerEU: 14
; NamedBarCnt: 0
; Occupancy: 16
; WaveLimiterHint : 1
; COMPUTE_PGM_RSRC2:SCRATCH_EN: 0
; COMPUTE_PGM_RSRC2:USER_SGPR: 2
; COMPUTE_PGM_RSRC2:TRAP_HANDLER: 0
; COMPUTE_PGM_RSRC2:TGID_X_EN: 1
; COMPUTE_PGM_RSRC2:TGID_Y_EN: 1
; COMPUTE_PGM_RSRC2:TGID_Z_EN: 1
; COMPUTE_PGM_RSRC2:TIDIG_COMP_CNT: 1
	.section	.text._ZN9rocsolver6v33100L9get_arrayIdlEEvPPT_S3_lT0_,"axG",@progbits,_ZN9rocsolver6v33100L9get_arrayIdlEEvPPT_S3_lT0_,comdat
	.globl	_ZN9rocsolver6v33100L9get_arrayIdlEEvPPT_S3_lT0_ ; -- Begin function _ZN9rocsolver6v33100L9get_arrayIdlEEvPPT_S3_lT0_
	.p2align	8
	.type	_ZN9rocsolver6v33100L9get_arrayIdlEEvPPT_S3_lT0_,@function
_ZN9rocsolver6v33100L9get_arrayIdlEEvPPT_S3_lT0_: ; @_ZN9rocsolver6v33100L9get_arrayIdlEEvPPT_S3_lT0_
; %bb.0:
	s_load_b32 s2, s[0:1], 0x2c
	s_bfe_u32 s12, ttmp6, 0x4000c
	s_load_b256 s[4:11], s[0:1], 0x0
	s_add_co_i32 s12, s12, 1
	s_and_b32 s3, ttmp6, 15
	s_wait_xcnt 0x0
	s_mul_i32 s1, ttmp9, s12
	s_getreg_b32 s0, hwreg(HW_REG_IB_STS2, 6, 4)
	v_mov_b32_e32 v1, 0
	s_add_co_i32 s3, s3, s1
	s_wait_kmcnt 0x0
	s_and_b32 s2, s2, 0xffff
	s_cmp_eq_u32 s0, 0
	s_cselect_b32 s0, ttmp9, s3
	s_delay_alu instid0(SALU_CYCLE_1) | instskip(SKIP_1) | instid1(VALU_DEP_1)
	v_mad_nc_u64_u32 v[0:1], s2, s0, v[0:1]
	s_mov_b32 s0, exec_lo
	v_cmpx_gt_i64_e64 s[10:11], v[0:1]
	s_cbranch_execz .LBB41_2
; %bb.1:
	v_mul_u64_e32 v[2:3], s[8:9], v[0:1]
	v_lshl_add_u64 v[0:1], v[0:1], 3, s[4:5]
	s_delay_alu instid0(VALU_DEP_2)
	v_lshl_add_u64 v[2:3], v[2:3], 3, s[6:7]
	global_store_b64 v[0:1], v[2:3], off
.LBB41_2:
	s_endpgm
	.section	.rodata,"a",@progbits
	.p2align	6, 0x0
	.amdhsa_kernel _ZN9rocsolver6v33100L9get_arrayIdlEEvPPT_S3_lT0_
		.amdhsa_group_segment_fixed_size 0
		.amdhsa_private_segment_fixed_size 0
		.amdhsa_kernarg_size 288
		.amdhsa_user_sgpr_count 2
		.amdhsa_user_sgpr_dispatch_ptr 0
		.amdhsa_user_sgpr_queue_ptr 0
		.amdhsa_user_sgpr_kernarg_segment_ptr 1
		.amdhsa_user_sgpr_dispatch_id 0
		.amdhsa_user_sgpr_kernarg_preload_length 0
		.amdhsa_user_sgpr_kernarg_preload_offset 0
		.amdhsa_user_sgpr_private_segment_size 0
		.amdhsa_wavefront_size32 1
		.amdhsa_uses_dynamic_stack 0
		.amdhsa_enable_private_segment 0
		.amdhsa_system_sgpr_workgroup_id_x 1
		.amdhsa_system_sgpr_workgroup_id_y 0
		.amdhsa_system_sgpr_workgroup_id_z 0
		.amdhsa_system_sgpr_workgroup_info 0
		.amdhsa_system_vgpr_workitem_id 0
		.amdhsa_next_free_vgpr 4
		.amdhsa_next_free_sgpr 13
		.amdhsa_named_barrier_count 0
		.amdhsa_reserve_vcc 0
		.amdhsa_float_round_mode_32 0
		.amdhsa_float_round_mode_16_64 0
		.amdhsa_float_denorm_mode_32 3
		.amdhsa_float_denorm_mode_16_64 3
		.amdhsa_fp16_overflow 0
		.amdhsa_memory_ordered 1
		.amdhsa_forward_progress 1
		.amdhsa_inst_pref_size 2
		.amdhsa_round_robin_scheduling 0
		.amdhsa_exception_fp_ieee_invalid_op 0
		.amdhsa_exception_fp_denorm_src 0
		.amdhsa_exception_fp_ieee_div_zero 0
		.amdhsa_exception_fp_ieee_overflow 0
		.amdhsa_exception_fp_ieee_underflow 0
		.amdhsa_exception_fp_ieee_inexact 0
		.amdhsa_exception_int_div_zero 0
	.end_amdhsa_kernel
	.section	.text._ZN9rocsolver6v33100L9get_arrayIdlEEvPPT_S3_lT0_,"axG",@progbits,_ZN9rocsolver6v33100L9get_arrayIdlEEvPPT_S3_lT0_,comdat
.Lfunc_end41:
	.size	_ZN9rocsolver6v33100L9get_arrayIdlEEvPPT_S3_lT0_, .Lfunc_end41-_ZN9rocsolver6v33100L9get_arrayIdlEEvPPT_S3_lT0_
                                        ; -- End function
	.set _ZN9rocsolver6v33100L9get_arrayIdlEEvPPT_S3_lT0_.num_vgpr, 4
	.set _ZN9rocsolver6v33100L9get_arrayIdlEEvPPT_S3_lT0_.num_agpr, 0
	.set _ZN9rocsolver6v33100L9get_arrayIdlEEvPPT_S3_lT0_.numbered_sgpr, 13
	.set _ZN9rocsolver6v33100L9get_arrayIdlEEvPPT_S3_lT0_.num_named_barrier, 0
	.set _ZN9rocsolver6v33100L9get_arrayIdlEEvPPT_S3_lT0_.private_seg_size, 0
	.set _ZN9rocsolver6v33100L9get_arrayIdlEEvPPT_S3_lT0_.uses_vcc, 0
	.set _ZN9rocsolver6v33100L9get_arrayIdlEEvPPT_S3_lT0_.uses_flat_scratch, 0
	.set _ZN9rocsolver6v33100L9get_arrayIdlEEvPPT_S3_lT0_.has_dyn_sized_stack, 0
	.set _ZN9rocsolver6v33100L9get_arrayIdlEEvPPT_S3_lT0_.has_recursion, 0
	.set _ZN9rocsolver6v33100L9get_arrayIdlEEvPPT_S3_lT0_.has_indirect_call, 0
	.section	.AMDGPU.csdata,"",@progbits
; Kernel info:
; codeLenInByte = 140
; TotalNumSgprs: 13
; NumVgprs: 4
; ScratchSize: 0
; MemoryBound: 0
; FloatMode: 240
; IeeeMode: 1
; LDSByteSize: 0 bytes/workgroup (compile time only)
; SGPRBlocks: 0
; VGPRBlocks: 0
; NumSGPRsForWavesPerEU: 13
; NumVGPRsForWavesPerEU: 4
; NamedBarCnt: 0
; Occupancy: 16
; WaveLimiterHint : 0
; COMPUTE_PGM_RSRC2:SCRATCH_EN: 0
; COMPUTE_PGM_RSRC2:USER_SGPR: 2
; COMPUTE_PGM_RSRC2:TRAP_HANDLER: 0
; COMPUTE_PGM_RSRC2:TGID_X_EN: 1
; COMPUTE_PGM_RSRC2:TGID_Y_EN: 0
; COMPUTE_PGM_RSRC2:TGID_Z_EN: 0
; COMPUTE_PGM_RSRC2:TIDIG_COMP_CNT: 0
	.section	.text._ZN9rocsolver6v33100L16mfma_gemm_kernelIdlPKdPdPKS4_S6_EEv18rocblas_operation_S7_T0_S8_S8_T1_T2_lS8_S8_lT3_lS8_S8_lS9_T4_lS8_S8_l,"axG",@progbits,_ZN9rocsolver6v33100L16mfma_gemm_kernelIdlPKdPdPKS4_S6_EEv18rocblas_operation_S7_T0_S8_S8_T1_T2_lS8_S8_lT3_lS8_S8_lS9_T4_lS8_S8_l,comdat
	.globl	_ZN9rocsolver6v33100L16mfma_gemm_kernelIdlPKdPdPKS4_S6_EEv18rocblas_operation_S7_T0_S8_S8_T1_T2_lS8_S8_lT3_lS8_S8_lS9_T4_lS8_S8_l ; -- Begin function _ZN9rocsolver6v33100L16mfma_gemm_kernelIdlPKdPdPKS4_S6_EEv18rocblas_operation_S7_T0_S8_S8_T1_T2_lS8_S8_lT3_lS8_S8_lS9_T4_lS8_S8_l
	.p2align	8
	.type	_ZN9rocsolver6v33100L16mfma_gemm_kernelIdlPKdPdPKS4_S6_EEv18rocblas_operation_S7_T0_S8_S8_T1_T2_lS8_S8_lT3_lS8_S8_lS9_T4_lS8_S8_l,@function
_ZN9rocsolver6v33100L16mfma_gemm_kernelIdlPKdPdPKS4_S6_EEv18rocblas_operation_S7_T0_S8_S8_T1_T2_lS8_S8_lT3_lS8_S8_lS9_T4_lS8_S8_l: ; @_ZN9rocsolver6v33100L16mfma_gemm_kernelIdlPKdPdPKS4_S6_EEv18rocblas_operation_S7_T0_S8_S8_T1_T2_lS8_S8_lT3_lS8_S8_lS9_T4_lS8_S8_l
; %bb.0:
	s_endpgm
	.section	.rodata,"a",@progbits
	.p2align	6, 0x0
	.amdhsa_kernel _ZN9rocsolver6v33100L16mfma_gemm_kernelIdlPKdPdPKS4_S6_EEv18rocblas_operation_S7_T0_S8_S8_T1_T2_lS8_S8_lT3_lS8_S8_lS9_T4_lS8_S8_l
		.amdhsa_group_segment_fixed_size 0
		.amdhsa_private_segment_fixed_size 0
		.amdhsa_kernarg_size 168
		.amdhsa_user_sgpr_count 2
		.amdhsa_user_sgpr_dispatch_ptr 0
		.amdhsa_user_sgpr_queue_ptr 0
		.amdhsa_user_sgpr_kernarg_segment_ptr 1
		.amdhsa_user_sgpr_dispatch_id 0
		.amdhsa_user_sgpr_kernarg_preload_length 0
		.amdhsa_user_sgpr_kernarg_preload_offset 0
		.amdhsa_user_sgpr_private_segment_size 0
		.amdhsa_wavefront_size32 1
		.amdhsa_uses_dynamic_stack 0
		.amdhsa_enable_private_segment 0
		.amdhsa_system_sgpr_workgroup_id_x 1
		.amdhsa_system_sgpr_workgroup_id_y 0
		.amdhsa_system_sgpr_workgroup_id_z 0
		.amdhsa_system_sgpr_workgroup_info 0
		.amdhsa_system_vgpr_workitem_id 0
		.amdhsa_next_free_vgpr 1
		.amdhsa_next_free_sgpr 1
		.amdhsa_named_barrier_count 0
		.amdhsa_reserve_vcc 0
		.amdhsa_float_round_mode_32 0
		.amdhsa_float_round_mode_16_64 0
		.amdhsa_float_denorm_mode_32 3
		.amdhsa_float_denorm_mode_16_64 3
		.amdhsa_fp16_overflow 0
		.amdhsa_memory_ordered 1
		.amdhsa_forward_progress 1
		.amdhsa_inst_pref_size 1
		.amdhsa_round_robin_scheduling 0
		.amdhsa_exception_fp_ieee_invalid_op 0
		.amdhsa_exception_fp_denorm_src 0
		.amdhsa_exception_fp_ieee_div_zero 0
		.amdhsa_exception_fp_ieee_overflow 0
		.amdhsa_exception_fp_ieee_underflow 0
		.amdhsa_exception_fp_ieee_inexact 0
		.amdhsa_exception_int_div_zero 0
	.end_amdhsa_kernel
	.section	.text._ZN9rocsolver6v33100L16mfma_gemm_kernelIdlPKdPdPKS4_S6_EEv18rocblas_operation_S7_T0_S8_S8_T1_T2_lS8_S8_lT3_lS8_S8_lS9_T4_lS8_S8_l,"axG",@progbits,_ZN9rocsolver6v33100L16mfma_gemm_kernelIdlPKdPdPKS4_S6_EEv18rocblas_operation_S7_T0_S8_S8_T1_T2_lS8_S8_lT3_lS8_S8_lS9_T4_lS8_S8_l,comdat
.Lfunc_end42:
	.size	_ZN9rocsolver6v33100L16mfma_gemm_kernelIdlPKdPdPKS4_S6_EEv18rocblas_operation_S7_T0_S8_S8_T1_T2_lS8_S8_lT3_lS8_S8_lS9_T4_lS8_S8_l, .Lfunc_end42-_ZN9rocsolver6v33100L16mfma_gemm_kernelIdlPKdPdPKS4_S6_EEv18rocblas_operation_S7_T0_S8_S8_T1_T2_lS8_S8_lT3_lS8_S8_lS9_T4_lS8_S8_l
                                        ; -- End function
	.set _ZN9rocsolver6v33100L16mfma_gemm_kernelIdlPKdPdPKS4_S6_EEv18rocblas_operation_S7_T0_S8_S8_T1_T2_lS8_S8_lT3_lS8_S8_lS9_T4_lS8_S8_l.num_vgpr, 0
	.set _ZN9rocsolver6v33100L16mfma_gemm_kernelIdlPKdPdPKS4_S6_EEv18rocblas_operation_S7_T0_S8_S8_T1_T2_lS8_S8_lT3_lS8_S8_lS9_T4_lS8_S8_l.num_agpr, 0
	.set _ZN9rocsolver6v33100L16mfma_gemm_kernelIdlPKdPdPKS4_S6_EEv18rocblas_operation_S7_T0_S8_S8_T1_T2_lS8_S8_lT3_lS8_S8_lS9_T4_lS8_S8_l.numbered_sgpr, 0
	.set _ZN9rocsolver6v33100L16mfma_gemm_kernelIdlPKdPdPKS4_S6_EEv18rocblas_operation_S7_T0_S8_S8_T1_T2_lS8_S8_lT3_lS8_S8_lS9_T4_lS8_S8_l.num_named_barrier, 0
	.set _ZN9rocsolver6v33100L16mfma_gemm_kernelIdlPKdPdPKS4_S6_EEv18rocblas_operation_S7_T0_S8_S8_T1_T2_lS8_S8_lT3_lS8_S8_lS9_T4_lS8_S8_l.private_seg_size, 0
	.set _ZN9rocsolver6v33100L16mfma_gemm_kernelIdlPKdPdPKS4_S6_EEv18rocblas_operation_S7_T0_S8_S8_T1_T2_lS8_S8_lT3_lS8_S8_lS9_T4_lS8_S8_l.uses_vcc, 0
	.set _ZN9rocsolver6v33100L16mfma_gemm_kernelIdlPKdPdPKS4_S6_EEv18rocblas_operation_S7_T0_S8_S8_T1_T2_lS8_S8_lT3_lS8_S8_lS9_T4_lS8_S8_l.uses_flat_scratch, 0
	.set _ZN9rocsolver6v33100L16mfma_gemm_kernelIdlPKdPdPKS4_S6_EEv18rocblas_operation_S7_T0_S8_S8_T1_T2_lS8_S8_lT3_lS8_S8_lS9_T4_lS8_S8_l.has_dyn_sized_stack, 0
	.set _ZN9rocsolver6v33100L16mfma_gemm_kernelIdlPKdPdPKS4_S6_EEv18rocblas_operation_S7_T0_S8_S8_T1_T2_lS8_S8_lT3_lS8_S8_lS9_T4_lS8_S8_l.has_recursion, 0
	.set _ZN9rocsolver6v33100L16mfma_gemm_kernelIdlPKdPdPKS4_S6_EEv18rocblas_operation_S7_T0_S8_S8_T1_T2_lS8_S8_lT3_lS8_S8_lS9_T4_lS8_S8_l.has_indirect_call, 0
	.section	.AMDGPU.csdata,"",@progbits
; Kernel info:
; codeLenInByte = 4
; TotalNumSgprs: 0
; NumVgprs: 0
; ScratchSize: 0
; MemoryBound: 0
; FloatMode: 240
; IeeeMode: 1
; LDSByteSize: 0 bytes/workgroup (compile time only)
; SGPRBlocks: 0
; VGPRBlocks: 0
; NumSGPRsForWavesPerEU: 1
; NumVGPRsForWavesPerEU: 1
; NamedBarCnt: 0
; Occupancy: 16
; WaveLimiterHint : 0
; COMPUTE_PGM_RSRC2:SCRATCH_EN: 0
; COMPUTE_PGM_RSRC2:USER_SGPR: 2
; COMPUTE_PGM_RSRC2:TRAP_HANDLER: 0
; COMPUTE_PGM_RSRC2:TGID_X_EN: 1
; COMPUTE_PGM_RSRC2:TGID_Y_EN: 0
; COMPUTE_PGM_RSRC2:TGID_Z_EN: 0
; COMPUTE_PGM_RSRC2:TIDIG_COMP_CNT: 0
	.section	.text._ZN9rocsolver6v33100L16mfma_gemm_kernelIdldPdPKS2_S4_EEv18rocblas_operation_S5_T0_S6_S6_T1_T2_lS6_S6_lT3_lS6_S6_lS7_T4_lS6_S6_l,"axG",@progbits,_ZN9rocsolver6v33100L16mfma_gemm_kernelIdldPdPKS2_S4_EEv18rocblas_operation_S5_T0_S6_S6_T1_T2_lS6_S6_lT3_lS6_S6_lS7_T4_lS6_S6_l,comdat
	.globl	_ZN9rocsolver6v33100L16mfma_gemm_kernelIdldPdPKS2_S4_EEv18rocblas_operation_S5_T0_S6_S6_T1_T2_lS6_S6_lT3_lS6_S6_lS7_T4_lS6_S6_l ; -- Begin function _ZN9rocsolver6v33100L16mfma_gemm_kernelIdldPdPKS2_S4_EEv18rocblas_operation_S5_T0_S6_S6_T1_T2_lS6_S6_lT3_lS6_S6_lS7_T4_lS6_S6_l
	.p2align	8
	.type	_ZN9rocsolver6v33100L16mfma_gemm_kernelIdldPdPKS2_S4_EEv18rocblas_operation_S5_T0_S6_S6_T1_T2_lS6_S6_lT3_lS6_S6_lS7_T4_lS6_S6_l,@function
_ZN9rocsolver6v33100L16mfma_gemm_kernelIdldPdPKS2_S4_EEv18rocblas_operation_S5_T0_S6_S6_T1_T2_lS6_S6_lT3_lS6_S6_lS7_T4_lS6_S6_l: ; @_ZN9rocsolver6v33100L16mfma_gemm_kernelIdldPdPKS2_S4_EEv18rocblas_operation_S5_T0_S6_S6_T1_T2_lS6_S6_lT3_lS6_S6_lS7_T4_lS6_S6_l
; %bb.0:
	s_endpgm
	.section	.rodata,"a",@progbits
	.p2align	6, 0x0
	.amdhsa_kernel _ZN9rocsolver6v33100L16mfma_gemm_kernelIdldPdPKS2_S4_EEv18rocblas_operation_S5_T0_S6_S6_T1_T2_lS6_S6_lT3_lS6_S6_lS7_T4_lS6_S6_l
		.amdhsa_group_segment_fixed_size 0
		.amdhsa_private_segment_fixed_size 0
		.amdhsa_kernarg_size 168
		.amdhsa_user_sgpr_count 2
		.amdhsa_user_sgpr_dispatch_ptr 0
		.amdhsa_user_sgpr_queue_ptr 0
		.amdhsa_user_sgpr_kernarg_segment_ptr 1
		.amdhsa_user_sgpr_dispatch_id 0
		.amdhsa_user_sgpr_kernarg_preload_length 0
		.amdhsa_user_sgpr_kernarg_preload_offset 0
		.amdhsa_user_sgpr_private_segment_size 0
		.amdhsa_wavefront_size32 1
		.amdhsa_uses_dynamic_stack 0
		.amdhsa_enable_private_segment 0
		.amdhsa_system_sgpr_workgroup_id_x 1
		.amdhsa_system_sgpr_workgroup_id_y 0
		.amdhsa_system_sgpr_workgroup_id_z 0
		.amdhsa_system_sgpr_workgroup_info 0
		.amdhsa_system_vgpr_workitem_id 0
		.amdhsa_next_free_vgpr 1
		.amdhsa_next_free_sgpr 1
		.amdhsa_named_barrier_count 0
		.amdhsa_reserve_vcc 0
		.amdhsa_float_round_mode_32 0
		.amdhsa_float_round_mode_16_64 0
		.amdhsa_float_denorm_mode_32 3
		.amdhsa_float_denorm_mode_16_64 3
		.amdhsa_fp16_overflow 0
		.amdhsa_memory_ordered 1
		.amdhsa_forward_progress 1
		.amdhsa_inst_pref_size 1
		.amdhsa_round_robin_scheduling 0
		.amdhsa_exception_fp_ieee_invalid_op 0
		.amdhsa_exception_fp_denorm_src 0
		.amdhsa_exception_fp_ieee_div_zero 0
		.amdhsa_exception_fp_ieee_overflow 0
		.amdhsa_exception_fp_ieee_underflow 0
		.amdhsa_exception_fp_ieee_inexact 0
		.amdhsa_exception_int_div_zero 0
	.end_amdhsa_kernel
	.section	.text._ZN9rocsolver6v33100L16mfma_gemm_kernelIdldPdPKS2_S4_EEv18rocblas_operation_S5_T0_S6_S6_T1_T2_lS6_S6_lT3_lS6_S6_lS7_T4_lS6_S6_l,"axG",@progbits,_ZN9rocsolver6v33100L16mfma_gemm_kernelIdldPdPKS2_S4_EEv18rocblas_operation_S5_T0_S6_S6_T1_T2_lS6_S6_lT3_lS6_S6_lS7_T4_lS6_S6_l,comdat
.Lfunc_end43:
	.size	_ZN9rocsolver6v33100L16mfma_gemm_kernelIdldPdPKS2_S4_EEv18rocblas_operation_S5_T0_S6_S6_T1_T2_lS6_S6_lT3_lS6_S6_lS7_T4_lS6_S6_l, .Lfunc_end43-_ZN9rocsolver6v33100L16mfma_gemm_kernelIdldPdPKS2_S4_EEv18rocblas_operation_S5_T0_S6_S6_T1_T2_lS6_S6_lT3_lS6_S6_lS7_T4_lS6_S6_l
                                        ; -- End function
	.set _ZN9rocsolver6v33100L16mfma_gemm_kernelIdldPdPKS2_S4_EEv18rocblas_operation_S5_T0_S6_S6_T1_T2_lS6_S6_lT3_lS6_S6_lS7_T4_lS6_S6_l.num_vgpr, 0
	.set _ZN9rocsolver6v33100L16mfma_gemm_kernelIdldPdPKS2_S4_EEv18rocblas_operation_S5_T0_S6_S6_T1_T2_lS6_S6_lT3_lS6_S6_lS7_T4_lS6_S6_l.num_agpr, 0
	.set _ZN9rocsolver6v33100L16mfma_gemm_kernelIdldPdPKS2_S4_EEv18rocblas_operation_S5_T0_S6_S6_T1_T2_lS6_S6_lT3_lS6_S6_lS7_T4_lS6_S6_l.numbered_sgpr, 0
	.set _ZN9rocsolver6v33100L16mfma_gemm_kernelIdldPdPKS2_S4_EEv18rocblas_operation_S5_T0_S6_S6_T1_T2_lS6_S6_lT3_lS6_S6_lS7_T4_lS6_S6_l.num_named_barrier, 0
	.set _ZN9rocsolver6v33100L16mfma_gemm_kernelIdldPdPKS2_S4_EEv18rocblas_operation_S5_T0_S6_S6_T1_T2_lS6_S6_lT3_lS6_S6_lS7_T4_lS6_S6_l.private_seg_size, 0
	.set _ZN9rocsolver6v33100L16mfma_gemm_kernelIdldPdPKS2_S4_EEv18rocblas_operation_S5_T0_S6_S6_T1_T2_lS6_S6_lT3_lS6_S6_lS7_T4_lS6_S6_l.uses_vcc, 0
	.set _ZN9rocsolver6v33100L16mfma_gemm_kernelIdldPdPKS2_S4_EEv18rocblas_operation_S5_T0_S6_S6_T1_T2_lS6_S6_lT3_lS6_S6_lS7_T4_lS6_S6_l.uses_flat_scratch, 0
	.set _ZN9rocsolver6v33100L16mfma_gemm_kernelIdldPdPKS2_S4_EEv18rocblas_operation_S5_T0_S6_S6_T1_T2_lS6_S6_lT3_lS6_S6_lS7_T4_lS6_S6_l.has_dyn_sized_stack, 0
	.set _ZN9rocsolver6v33100L16mfma_gemm_kernelIdldPdPKS2_S4_EEv18rocblas_operation_S5_T0_S6_S6_T1_T2_lS6_S6_lT3_lS6_S6_lS7_T4_lS6_S6_l.has_recursion, 0
	.set _ZN9rocsolver6v33100L16mfma_gemm_kernelIdldPdPKS2_S4_EEv18rocblas_operation_S5_T0_S6_S6_T1_T2_lS6_S6_lT3_lS6_S6_lS7_T4_lS6_S6_l.has_indirect_call, 0
	.section	.AMDGPU.csdata,"",@progbits
; Kernel info:
; codeLenInByte = 4
; TotalNumSgprs: 0
; NumVgprs: 0
; ScratchSize: 0
; MemoryBound: 0
; FloatMode: 240
; IeeeMode: 1
; LDSByteSize: 0 bytes/workgroup (compile time only)
; SGPRBlocks: 0
; VGPRBlocks: 0
; NumSGPRsForWavesPerEU: 1
; NumVGPRsForWavesPerEU: 1
; NamedBarCnt: 0
; Occupancy: 16
; WaveLimiterHint : 0
; COMPUTE_PGM_RSRC2:SCRATCH_EN: 0
; COMPUTE_PGM_RSRC2:USER_SGPR: 2
; COMPUTE_PGM_RSRC2:TRAP_HANDLER: 0
; COMPUTE_PGM_RSRC2:TGID_X_EN: 1
; COMPUTE_PGM_RSRC2:TGID_Y_EN: 0
; COMPUTE_PGM_RSRC2:TGID_Z_EN: 0
; COMPUTE_PGM_RSRC2:TIDIG_COMP_CNT: 0
	.section	.text._ZN9rocsolver6v33100L11gemm_kernelIdlPKdPdPKS4_S6_EEvT0_S7_S7_T1_bT2_lS7_S7_lbT3_lS7_S7_lS8_T4_lS7_S7_l,"axG",@progbits,_ZN9rocsolver6v33100L11gemm_kernelIdlPKdPdPKS4_S6_EEvT0_S7_S7_T1_bT2_lS7_S7_lbT3_lS7_S7_lS8_T4_lS7_S7_l,comdat
	.globl	_ZN9rocsolver6v33100L11gemm_kernelIdlPKdPdPKS4_S6_EEvT0_S7_S7_T1_bT2_lS7_S7_lbT3_lS7_S7_lS8_T4_lS7_S7_l ; -- Begin function _ZN9rocsolver6v33100L11gemm_kernelIdlPKdPdPKS4_S6_EEvT0_S7_S7_T1_bT2_lS7_S7_lbT3_lS7_S7_lS8_T4_lS7_S7_l
	.p2align	8
	.type	_ZN9rocsolver6v33100L11gemm_kernelIdlPKdPdPKS4_S6_EEvT0_S7_S7_T1_bT2_lS7_S7_lbT3_lS7_S7_lS8_T4_lS7_S7_l,@function
_ZN9rocsolver6v33100L11gemm_kernelIdlPKdPdPKS4_S6_EEvT0_S7_S7_T1_bT2_lS7_S7_lbT3_lS7_S7_lS8_T4_lS7_S7_l: ; @_ZN9rocsolver6v33100L11gemm_kernelIdlPKdPdPKS4_S6_EEvT0_S7_S7_T1_bT2_lS7_S7_lbT3_lS7_S7_lS8_T4_lS7_S7_l
; %bb.0:
	s_load_b32 s2, s[0:1], 0xbc
	s_bfe_u32 s12, ttmp6, 0x40010
	s_bfe_u32 s15, ttmp6, 0x4000c
	s_and_b32 s3, ttmp7, 0xffff
	s_add_co_i32 s12, s12, 1
	s_add_co_i32 s15, s15, 1
	s_bfe_u32 s13, ttmp6, 0x40004
	s_and_b32 s14, ttmp6, 15
	s_mul_i32 s12, s3, s12
	s_mul_i32 s15, ttmp9, s15
	s_getreg_b32 s20, hwreg(HW_REG_IB_STS2, 6, 4)
	v_mov_b32_e32 v5, 0
	v_and_b32_e32 v4, 0x3ff, v0
	s_add_co_i32 s13, s13, s12
	s_add_co_i32 s14, s14, s15
	s_load_b256 s[4:11], s[0:1], 0x0
	s_wait_kmcnt 0x0
	s_lshr_b32 s12, s2, 16
	s_and_b32 s2, s2, 0xffff
	s_cmp_eq_u32 s20, 0
	s_cselect_b32 s14, ttmp9, s14
	s_delay_alu instid0(SALU_CYCLE_1)
	v_mad_nc_u64_u32 v[2:3], s2, s14, v[4:5]
	v_bfe_u32 v4, v0, 10, 10
	s_cselect_b32 s2, s3, s13
	s_delay_alu instid0(VALU_DEP_1) | instid1(SALU_CYCLE_1)
	v_mad_nc_u64_u32 v[0:1], s12, s2, v[4:5]
	s_delay_alu instid0(VALU_DEP_3) | instskip(SKIP_1) | instid1(VALU_DEP_2)
	v_cmp_gt_i64_e32 vcc_lo, s[4:5], v[2:3]
	s_mov_b32 s5, 0
	v_cmp_gt_i64_e64 s2, s[6:7], v[0:1]
	s_and_b32 s2, vcc_lo, s2
	s_delay_alu instid0(SALU_CYCLE_1)
	s_and_saveexec_b32 s3, s2
	s_cbranch_execz .LBB44_6
; %bb.1:
	s_clause 0x1
	s_load_b256 s[12:19], s[0:1], 0x80
	s_load_b64 s[2:3], s[0:1], 0xa0
	s_bfe_u32 s4, ttmp6, 0x40014
	s_lshr_b32 s6, ttmp7, 16
	s_add_co_i32 s4, s4, 1
	v_cmp_lt_i64_e64 s7, s[8:9], 1
	s_mul_i32 s4, s6, s4
	s_bfe_u32 s21, ttmp6, 0x40008
	s_delay_alu instid0(SALU_CYCLE_1)
	s_add_co_i32 s21, s21, s4
	s_cmp_eq_u32 s20, 0
	s_cselect_b32 s4, s6, s21
	s_and_b32 vcc_lo, exec_lo, s7
	s_cbranch_vccnz .LBB44_4
; %bb.2:
	s_clause 0x1
	s_load_b256 s[20:27], s[0:1], 0x28
	s_load_b256 s[36:43], s[0:1], 0x58
	v_mov_b64_e32 v[4:5], 0
	s_wait_kmcnt 0x0
	v_mul_u64_e32 v[6:7], s[24:25], v[2:3]
	v_mul_u64_e32 v[8:9], s[42:43], v[0:1]
	s_load_b64 s[6:7], s[0:1], 0x48
	s_load_b64 s[24:25], s[36:37], s4 offset:0x0 scale_offset
	s_wait_kmcnt 0x0
	s_mul_u64 s[0:1], s[6:7], s[4:5]
	s_lshl_b64 s[6:7], s[22:23], 3
	s_lshl_b64 s[0:1], s[0:1], 3
	s_delay_alu instid0(SALU_CYCLE_1) | instskip(SKIP_3) | instid1(VALU_DEP_2)
	s_add_nc_u64 s[0:1], s[20:21], s[0:1]
	s_lshl_b64 s[20:21], s[38:39], 3
	s_add_nc_u64 s[0:1], s[0:1], s[6:7]
	s_add_nc_u64 s[6:7], s[24:25], s[20:21]
	v_lshl_add_u64 v[6:7], v[6:7], 3, s[0:1]
	s_delay_alu instid0(VALU_DEP_2)
	v_lshl_add_u64 v[8:9], v[8:9], 3, s[6:7]
	s_lshl_b64 s[0:1], s[40:41], 3
	s_lshl_b64 s[6:7], s[26:27], 3
.LBB44_3:                               ; =>This Inner Loop Header: Depth=1
	global_load_b64 v[10:11], v[6:7], off
	flat_load_b64 v[12:13], v[8:9]
	s_wait_xcnt 0x0
	v_add_nc_u64_e32 v[8:9], s[0:1], v[8:9]
	v_add_nc_u64_e32 v[6:7], s[6:7], v[6:7]
	s_add_nc_u64 s[8:9], s[8:9], -1
	s_delay_alu instid0(SALU_CYCLE_1)
	s_cmp_eq_u64 s[8:9], 0
	s_wait_loadcnt_dscnt 0x0
	v_fmac_f64_e32 v[4:5], v[10:11], v[12:13]
	s_cbranch_scc0 .LBB44_3
	s_branch .LBB44_5
.LBB44_4:
	v_mov_b64_e32 v[4:5], 0
.LBB44_5:
	s_wait_kmcnt 0x0
	v_mul_u64_e32 v[2:3], s[18:19], v[2:3]
	v_mul_u64_e32 v[0:1], s[2:3], v[0:1]
	s_load_b64 s[0:1], s[10:11], 0x0
	s_load_b64 s[6:7], s[12:13], 0x0
	s_load_b64 s[8:9], s[14:15], s4 offset:0x0 scale_offset
	s_lshl_b64 s[2:3], s[16:17], 3
	s_wait_kmcnt 0x0
	s_add_nc_u64 s[2:3], s[8:9], s[2:3]
	s_delay_alu instid0(VALU_DEP_2) | instid1(SALU_CYCLE_1)
	v_lshl_add_u64 v[2:3], v[2:3], 3, s[2:3]
	s_delay_alu instid0(VALU_DEP_1) | instskip(SKIP_3) | instid1(VALU_DEP_1)
	v_lshl_add_u64 v[0:1], v[0:1], 3, v[2:3]
	flat_load_b64 v[2:3], v[0:1]
	s_wait_loadcnt_dscnt 0x0
	v_mul_f64_e32 v[2:3], s[6:7], v[2:3]
	v_fmac_f64_e32 v[2:3], s[0:1], v[4:5]
	flat_store_b64 v[0:1], v[2:3]
.LBB44_6:
	s_endpgm
	.section	.rodata,"a",@progbits
	.p2align	6, 0x0
	.amdhsa_kernel _ZN9rocsolver6v33100L11gemm_kernelIdlPKdPdPKS4_S6_EEvT0_S7_S7_T1_bT2_lS7_S7_lbT3_lS7_S7_lS8_T4_lS7_S7_l
		.amdhsa_group_segment_fixed_size 0
		.amdhsa_private_segment_fixed_size 0
		.amdhsa_kernarg_size 432
		.amdhsa_user_sgpr_count 2
		.amdhsa_user_sgpr_dispatch_ptr 0
		.amdhsa_user_sgpr_queue_ptr 0
		.amdhsa_user_sgpr_kernarg_segment_ptr 1
		.amdhsa_user_sgpr_dispatch_id 0
		.amdhsa_user_sgpr_kernarg_preload_length 0
		.amdhsa_user_sgpr_kernarg_preload_offset 0
		.amdhsa_user_sgpr_private_segment_size 0
		.amdhsa_wavefront_size32 1
		.amdhsa_uses_dynamic_stack 0
		.amdhsa_enable_private_segment 0
		.amdhsa_system_sgpr_workgroup_id_x 1
		.amdhsa_system_sgpr_workgroup_id_y 1
		.amdhsa_system_sgpr_workgroup_id_z 1
		.amdhsa_system_sgpr_workgroup_info 0
		.amdhsa_system_vgpr_workitem_id 1
		.amdhsa_next_free_vgpr 14
		.amdhsa_next_free_sgpr 44
		.amdhsa_named_barrier_count 0
		.amdhsa_reserve_vcc 1
		.amdhsa_float_round_mode_32 0
		.amdhsa_float_round_mode_16_64 0
		.amdhsa_float_denorm_mode_32 3
		.amdhsa_float_denorm_mode_16_64 3
		.amdhsa_fp16_overflow 0
		.amdhsa_memory_ordered 1
		.amdhsa_forward_progress 1
		.amdhsa_inst_pref_size 5
		.amdhsa_round_robin_scheduling 0
		.amdhsa_exception_fp_ieee_invalid_op 0
		.amdhsa_exception_fp_denorm_src 0
		.amdhsa_exception_fp_ieee_div_zero 0
		.amdhsa_exception_fp_ieee_overflow 0
		.amdhsa_exception_fp_ieee_underflow 0
		.amdhsa_exception_fp_ieee_inexact 0
		.amdhsa_exception_int_div_zero 0
	.end_amdhsa_kernel
	.section	.text._ZN9rocsolver6v33100L11gemm_kernelIdlPKdPdPKS4_S6_EEvT0_S7_S7_T1_bT2_lS7_S7_lbT3_lS7_S7_lS8_T4_lS7_S7_l,"axG",@progbits,_ZN9rocsolver6v33100L11gemm_kernelIdlPKdPdPKS4_S6_EEvT0_S7_S7_T1_bT2_lS7_S7_lbT3_lS7_S7_lS8_T4_lS7_S7_l,comdat
.Lfunc_end44:
	.size	_ZN9rocsolver6v33100L11gemm_kernelIdlPKdPdPKS4_S6_EEvT0_S7_S7_T1_bT2_lS7_S7_lbT3_lS7_S7_lS8_T4_lS7_S7_l, .Lfunc_end44-_ZN9rocsolver6v33100L11gemm_kernelIdlPKdPdPKS4_S6_EEvT0_S7_S7_T1_bT2_lS7_S7_lbT3_lS7_S7_lS8_T4_lS7_S7_l
                                        ; -- End function
	.set _ZN9rocsolver6v33100L11gemm_kernelIdlPKdPdPKS4_S6_EEvT0_S7_S7_T1_bT2_lS7_S7_lbT3_lS7_S7_lS8_T4_lS7_S7_l.num_vgpr, 14
	.set _ZN9rocsolver6v33100L11gemm_kernelIdlPKdPdPKS4_S6_EEvT0_S7_S7_T1_bT2_lS7_S7_lbT3_lS7_S7_lS8_T4_lS7_S7_l.num_agpr, 0
	.set _ZN9rocsolver6v33100L11gemm_kernelIdlPKdPdPKS4_S6_EEvT0_S7_S7_T1_bT2_lS7_S7_lbT3_lS7_S7_lS8_T4_lS7_S7_l.numbered_sgpr, 44
	.set _ZN9rocsolver6v33100L11gemm_kernelIdlPKdPdPKS4_S6_EEvT0_S7_S7_T1_bT2_lS7_S7_lbT3_lS7_S7_lS8_T4_lS7_S7_l.num_named_barrier, 0
	.set _ZN9rocsolver6v33100L11gemm_kernelIdlPKdPdPKS4_S6_EEvT0_S7_S7_T1_bT2_lS7_S7_lbT3_lS7_S7_lS8_T4_lS7_S7_l.private_seg_size, 0
	.set _ZN9rocsolver6v33100L11gemm_kernelIdlPKdPdPKS4_S6_EEvT0_S7_S7_T1_bT2_lS7_S7_lbT3_lS7_S7_lS8_T4_lS7_S7_l.uses_vcc, 1
	.set _ZN9rocsolver6v33100L11gemm_kernelIdlPKdPdPKS4_S6_EEvT0_S7_S7_T1_bT2_lS7_S7_lbT3_lS7_S7_lS8_T4_lS7_S7_l.uses_flat_scratch, 0
	.set _ZN9rocsolver6v33100L11gemm_kernelIdlPKdPdPKS4_S6_EEvT0_S7_S7_T1_bT2_lS7_S7_lbT3_lS7_S7_lS8_T4_lS7_S7_l.has_dyn_sized_stack, 0
	.set _ZN9rocsolver6v33100L11gemm_kernelIdlPKdPdPKS4_S6_EEvT0_S7_S7_T1_bT2_lS7_S7_lbT3_lS7_S7_lS8_T4_lS7_S7_l.has_recursion, 0
	.set _ZN9rocsolver6v33100L11gemm_kernelIdlPKdPdPKS4_S6_EEvT0_S7_S7_T1_bT2_lS7_S7_lbT3_lS7_S7_lS8_T4_lS7_S7_l.has_indirect_call, 0
	.section	.AMDGPU.csdata,"",@progbits
; Kernel info:
; codeLenInByte = 564
; TotalNumSgprs: 46
; NumVgprs: 14
; ScratchSize: 0
; MemoryBound: 0
; FloatMode: 240
; IeeeMode: 1
; LDSByteSize: 0 bytes/workgroup (compile time only)
; SGPRBlocks: 0
; VGPRBlocks: 0
; NumSGPRsForWavesPerEU: 46
; NumVGPRsForWavesPerEU: 14
; NamedBarCnt: 0
; Occupancy: 16
; WaveLimiterHint : 1
; COMPUTE_PGM_RSRC2:SCRATCH_EN: 0
; COMPUTE_PGM_RSRC2:USER_SGPR: 2
; COMPUTE_PGM_RSRC2:TRAP_HANDLER: 0
; COMPUTE_PGM_RSRC2:TGID_X_EN: 1
; COMPUTE_PGM_RSRC2:TGID_Y_EN: 1
; COMPUTE_PGM_RSRC2:TGID_Z_EN: 1
; COMPUTE_PGM_RSRC2:TIDIG_COMP_CNT: 1
	.section	.text._ZN9rocsolver6v33100L11gemm_kernelIdldPdPKS2_S4_EEvT0_S5_S5_T1_bT2_lS5_S5_lbT3_lS5_S5_lS6_T4_lS5_S5_l,"axG",@progbits,_ZN9rocsolver6v33100L11gemm_kernelIdldPdPKS2_S4_EEvT0_S5_S5_T1_bT2_lS5_S5_lbT3_lS5_S5_lS6_T4_lS5_S5_l,comdat
	.globl	_ZN9rocsolver6v33100L11gemm_kernelIdldPdPKS2_S4_EEvT0_S5_S5_T1_bT2_lS5_S5_lbT3_lS5_S5_lS6_T4_lS5_S5_l ; -- Begin function _ZN9rocsolver6v33100L11gemm_kernelIdldPdPKS2_S4_EEvT0_S5_S5_T1_bT2_lS5_S5_lbT3_lS5_S5_lS6_T4_lS5_S5_l
	.p2align	8
	.type	_ZN9rocsolver6v33100L11gemm_kernelIdldPdPKS2_S4_EEvT0_S5_S5_T1_bT2_lS5_S5_lbT3_lS5_S5_lS6_T4_lS5_S5_l,@function
_ZN9rocsolver6v33100L11gemm_kernelIdldPdPKS2_S4_EEvT0_S5_S5_T1_bT2_lS5_S5_lbT3_lS5_S5_lS6_T4_lS5_S5_l: ; @_ZN9rocsolver6v33100L11gemm_kernelIdldPdPKS2_S4_EEvT0_S5_S5_T1_bT2_lS5_S5_lbT3_lS5_S5_lS6_T4_lS5_S5_l
; %bb.0:
	s_load_b32 s2, s[0:1], 0xbc
	s_bfe_u32 s12, ttmp6, 0x40010
	s_bfe_u32 s15, ttmp6, 0x4000c
	s_and_b32 s3, ttmp7, 0xffff
	s_add_co_i32 s12, s12, 1
	s_add_co_i32 s15, s15, 1
	s_bfe_u32 s13, ttmp6, 0x40004
	s_and_b32 s14, ttmp6, 15
	s_mul_i32 s12, s3, s12
	s_mul_i32 s15, ttmp9, s15
	s_getreg_b32 s20, hwreg(HW_REG_IB_STS2, 6, 4)
	v_mov_b32_e32 v5, 0
	v_and_b32_e32 v4, 0x3ff, v0
	s_add_co_i32 s13, s13, s12
	s_add_co_i32 s14, s14, s15
	s_load_b256 s[4:11], s[0:1], 0x0
	s_wait_kmcnt 0x0
	s_lshr_b32 s12, s2, 16
	s_and_b32 s2, s2, 0xffff
	s_cmp_eq_u32 s20, 0
	s_cselect_b32 s14, ttmp9, s14
	s_delay_alu instid0(SALU_CYCLE_1)
	v_mad_nc_u64_u32 v[2:3], s2, s14, v[4:5]
	v_bfe_u32 v4, v0, 10, 10
	s_cselect_b32 s2, s3, s13
	s_delay_alu instid0(VALU_DEP_1) | instid1(SALU_CYCLE_1)
	v_mad_nc_u64_u32 v[0:1], s12, s2, v[4:5]
	s_delay_alu instid0(VALU_DEP_3) | instskip(SKIP_1) | instid1(VALU_DEP_2)
	v_cmp_gt_i64_e32 vcc_lo, s[4:5], v[2:3]
	s_mov_b32 s5, 0
	v_cmp_gt_i64_e64 s2, s[6:7], v[0:1]
	s_and_b32 s2, vcc_lo, s2
	s_delay_alu instid0(SALU_CYCLE_1)
	s_and_saveexec_b32 s3, s2
	s_cbranch_execz .LBB45_6
; %bb.1:
	s_clause 0x1
	s_load_b256 s[12:19], s[0:1], 0x80
	s_load_b64 s[2:3], s[0:1], 0xa0
	s_bfe_u32 s4, ttmp6, 0x40014
	s_lshr_b32 s6, ttmp7, 16
	s_add_co_i32 s4, s4, 1
	v_cmp_lt_i64_e64 s7, s[8:9], 1
	s_mul_i32 s4, s6, s4
	s_bfe_u32 s21, ttmp6, 0x40008
	s_delay_alu instid0(SALU_CYCLE_1)
	s_add_co_i32 s21, s21, s4
	s_cmp_eq_u32 s20, 0
	s_cselect_b32 s4, s6, s21
	s_and_b32 vcc_lo, exec_lo, s7
	s_cbranch_vccnz .LBB45_4
; %bb.2:
	s_clause 0x1
	s_load_b256 s[20:27], s[0:1], 0x28
	s_load_b256 s[36:43], s[0:1], 0x58
	v_mov_b64_e32 v[4:5], 0
	s_wait_kmcnt 0x0
	v_mul_u64_e32 v[6:7], s[24:25], v[2:3]
	v_mul_u64_e32 v[8:9], s[42:43], v[0:1]
	s_load_b64 s[6:7], s[0:1], 0x48
	s_load_b64 s[24:25], s[36:37], s4 offset:0x0 scale_offset
	s_wait_kmcnt 0x0
	s_mul_u64 s[0:1], s[6:7], s[4:5]
	s_lshl_b64 s[6:7], s[22:23], 3
	s_lshl_b64 s[0:1], s[0:1], 3
	s_delay_alu instid0(SALU_CYCLE_1) | instskip(SKIP_3) | instid1(VALU_DEP_2)
	s_add_nc_u64 s[0:1], s[20:21], s[0:1]
	s_lshl_b64 s[20:21], s[38:39], 3
	s_add_nc_u64 s[0:1], s[0:1], s[6:7]
	s_add_nc_u64 s[6:7], s[24:25], s[20:21]
	v_lshl_add_u64 v[6:7], v[6:7], 3, s[0:1]
	s_delay_alu instid0(VALU_DEP_2)
	v_lshl_add_u64 v[8:9], v[8:9], 3, s[6:7]
	s_lshl_b64 s[0:1], s[40:41], 3
	s_lshl_b64 s[6:7], s[26:27], 3
.LBB45_3:                               ; =>This Inner Loop Header: Depth=1
	global_load_b64 v[10:11], v[6:7], off
	flat_load_b64 v[12:13], v[8:9]
	s_wait_xcnt 0x0
	v_add_nc_u64_e32 v[8:9], s[0:1], v[8:9]
	v_add_nc_u64_e32 v[6:7], s[6:7], v[6:7]
	s_add_nc_u64 s[8:9], s[8:9], -1
	s_delay_alu instid0(SALU_CYCLE_1)
	s_cmp_eq_u64 s[8:9], 0
	s_wait_loadcnt_dscnt 0x0
	v_fmac_f64_e32 v[4:5], v[10:11], v[12:13]
	s_cbranch_scc0 .LBB45_3
	s_branch .LBB45_5
.LBB45_4:
	v_mov_b64_e32 v[4:5], 0
.LBB45_5:
	s_wait_kmcnt 0x0
	v_mul_u64_e32 v[2:3], s[18:19], v[2:3]
	v_mul_u64_e32 v[0:1], s[2:3], v[0:1]
	s_load_b64 s[0:1], s[14:15], s4 offset:0x0 scale_offset
	s_lshl_b64 s[2:3], s[16:17], 3
	s_wait_kmcnt 0x0
	s_add_nc_u64 s[0:1], s[0:1], s[2:3]
	s_delay_alu instid0(VALU_DEP_2) | instid1(SALU_CYCLE_1)
	v_lshl_add_u64 v[2:3], v[2:3], 3, s[0:1]
	s_delay_alu instid0(VALU_DEP_1) | instskip(SKIP_3) | instid1(VALU_DEP_1)
	v_lshl_add_u64 v[0:1], v[0:1], 3, v[2:3]
	flat_load_b64 v[2:3], v[0:1]
	s_wait_loadcnt_dscnt 0x0
	v_mul_f64_e32 v[2:3], s[12:13], v[2:3]
	v_fmac_f64_e32 v[2:3], s[10:11], v[4:5]
	flat_store_b64 v[0:1], v[2:3]
.LBB45_6:
	s_endpgm
	.section	.rodata,"a",@progbits
	.p2align	6, 0x0
	.amdhsa_kernel _ZN9rocsolver6v33100L11gemm_kernelIdldPdPKS2_S4_EEvT0_S5_S5_T1_bT2_lS5_S5_lbT3_lS5_S5_lS6_T4_lS5_S5_l
		.amdhsa_group_segment_fixed_size 0
		.amdhsa_private_segment_fixed_size 0
		.amdhsa_kernarg_size 432
		.amdhsa_user_sgpr_count 2
		.amdhsa_user_sgpr_dispatch_ptr 0
		.amdhsa_user_sgpr_queue_ptr 0
		.amdhsa_user_sgpr_kernarg_segment_ptr 1
		.amdhsa_user_sgpr_dispatch_id 0
		.amdhsa_user_sgpr_kernarg_preload_length 0
		.amdhsa_user_sgpr_kernarg_preload_offset 0
		.amdhsa_user_sgpr_private_segment_size 0
		.amdhsa_wavefront_size32 1
		.amdhsa_uses_dynamic_stack 0
		.amdhsa_enable_private_segment 0
		.amdhsa_system_sgpr_workgroup_id_x 1
		.amdhsa_system_sgpr_workgroup_id_y 1
		.amdhsa_system_sgpr_workgroup_id_z 1
		.amdhsa_system_sgpr_workgroup_info 0
		.amdhsa_system_vgpr_workitem_id 1
		.amdhsa_next_free_vgpr 14
		.amdhsa_next_free_sgpr 44
		.amdhsa_named_barrier_count 0
		.amdhsa_reserve_vcc 1
		.amdhsa_float_round_mode_32 0
		.amdhsa_float_round_mode_16_64 0
		.amdhsa_float_denorm_mode_32 3
		.amdhsa_float_denorm_mode_16_64 3
		.amdhsa_fp16_overflow 0
		.amdhsa_memory_ordered 1
		.amdhsa_forward_progress 1
		.amdhsa_inst_pref_size 5
		.amdhsa_round_robin_scheduling 0
		.amdhsa_exception_fp_ieee_invalid_op 0
		.amdhsa_exception_fp_denorm_src 0
		.amdhsa_exception_fp_ieee_div_zero 0
		.amdhsa_exception_fp_ieee_overflow 0
		.amdhsa_exception_fp_ieee_underflow 0
		.amdhsa_exception_fp_ieee_inexact 0
		.amdhsa_exception_int_div_zero 0
	.end_amdhsa_kernel
	.section	.text._ZN9rocsolver6v33100L11gemm_kernelIdldPdPKS2_S4_EEvT0_S5_S5_T1_bT2_lS5_S5_lbT3_lS5_S5_lS6_T4_lS5_S5_l,"axG",@progbits,_ZN9rocsolver6v33100L11gemm_kernelIdldPdPKS2_S4_EEvT0_S5_S5_T1_bT2_lS5_S5_lbT3_lS5_S5_lS6_T4_lS5_S5_l,comdat
.Lfunc_end45:
	.size	_ZN9rocsolver6v33100L11gemm_kernelIdldPdPKS2_S4_EEvT0_S5_S5_T1_bT2_lS5_S5_lbT3_lS5_S5_lS6_T4_lS5_S5_l, .Lfunc_end45-_ZN9rocsolver6v33100L11gemm_kernelIdldPdPKS2_S4_EEvT0_S5_S5_T1_bT2_lS5_S5_lbT3_lS5_S5_lS6_T4_lS5_S5_l
                                        ; -- End function
	.set _ZN9rocsolver6v33100L11gemm_kernelIdldPdPKS2_S4_EEvT0_S5_S5_T1_bT2_lS5_S5_lbT3_lS5_S5_lS6_T4_lS5_S5_l.num_vgpr, 14
	.set _ZN9rocsolver6v33100L11gemm_kernelIdldPdPKS2_S4_EEvT0_S5_S5_T1_bT2_lS5_S5_lbT3_lS5_S5_lS6_T4_lS5_S5_l.num_agpr, 0
	.set _ZN9rocsolver6v33100L11gemm_kernelIdldPdPKS2_S4_EEvT0_S5_S5_T1_bT2_lS5_S5_lbT3_lS5_S5_lS6_T4_lS5_S5_l.numbered_sgpr, 44
	.set _ZN9rocsolver6v33100L11gemm_kernelIdldPdPKS2_S4_EEvT0_S5_S5_T1_bT2_lS5_S5_lbT3_lS5_S5_lS6_T4_lS5_S5_l.num_named_barrier, 0
	.set _ZN9rocsolver6v33100L11gemm_kernelIdldPdPKS2_S4_EEvT0_S5_S5_T1_bT2_lS5_S5_lbT3_lS5_S5_lS6_T4_lS5_S5_l.private_seg_size, 0
	.set _ZN9rocsolver6v33100L11gemm_kernelIdldPdPKS2_S4_EEvT0_S5_S5_T1_bT2_lS5_S5_lbT3_lS5_S5_lS6_T4_lS5_S5_l.uses_vcc, 1
	.set _ZN9rocsolver6v33100L11gemm_kernelIdldPdPKS2_S4_EEvT0_S5_S5_T1_bT2_lS5_S5_lbT3_lS5_S5_lS6_T4_lS5_S5_l.uses_flat_scratch, 0
	.set _ZN9rocsolver6v33100L11gemm_kernelIdldPdPKS2_S4_EEvT0_S5_S5_T1_bT2_lS5_S5_lbT3_lS5_S5_lS6_T4_lS5_S5_l.has_dyn_sized_stack, 0
	.set _ZN9rocsolver6v33100L11gemm_kernelIdldPdPKS2_S4_EEvT0_S5_S5_T1_bT2_lS5_S5_lbT3_lS5_S5_lS6_T4_lS5_S5_l.has_recursion, 0
	.set _ZN9rocsolver6v33100L11gemm_kernelIdldPdPKS2_S4_EEvT0_S5_S5_T1_bT2_lS5_S5_lbT3_lS5_S5_lS6_T4_lS5_S5_l.has_indirect_call, 0
	.section	.AMDGPU.csdata,"",@progbits
; Kernel info:
; codeLenInByte = 548
; TotalNumSgprs: 46
; NumVgprs: 14
; ScratchSize: 0
; MemoryBound: 0
; FloatMode: 240
; IeeeMode: 1
; LDSByteSize: 0 bytes/workgroup (compile time only)
; SGPRBlocks: 0
; VGPRBlocks: 0
; NumSGPRsForWavesPerEU: 46
; NumVGPRsForWavesPerEU: 14
; NamedBarCnt: 0
; Occupancy: 16
; WaveLimiterHint : 1
; COMPUTE_PGM_RSRC2:SCRATCH_EN: 0
; COMPUTE_PGM_RSRC2:USER_SGPR: 2
; COMPUTE_PGM_RSRC2:TRAP_HANDLER: 0
; COMPUTE_PGM_RSRC2:TGID_X_EN: 1
; COMPUTE_PGM_RSRC2:TGID_Y_EN: 1
; COMPUTE_PGM_RSRC2:TGID_Z_EN: 1
; COMPUTE_PGM_RSRC2:TIDIG_COMP_CNT: 1
	.section	.text._ZN9rocsolver6v33100L16mfma_gemm_kernelIdlPKdPKPdS4_S6_EEv18rocblas_operation_S7_T0_S8_S8_T1_T2_lS8_S8_lT3_lS8_S8_lS9_T4_lS8_S8_l,"axG",@progbits,_ZN9rocsolver6v33100L16mfma_gemm_kernelIdlPKdPKPdS4_S6_EEv18rocblas_operation_S7_T0_S8_S8_T1_T2_lS8_S8_lT3_lS8_S8_lS9_T4_lS8_S8_l,comdat
	.globl	_ZN9rocsolver6v33100L16mfma_gemm_kernelIdlPKdPKPdS4_S6_EEv18rocblas_operation_S7_T0_S8_S8_T1_T2_lS8_S8_lT3_lS8_S8_lS9_T4_lS8_S8_l ; -- Begin function _ZN9rocsolver6v33100L16mfma_gemm_kernelIdlPKdPKPdS4_S6_EEv18rocblas_operation_S7_T0_S8_S8_T1_T2_lS8_S8_lT3_lS8_S8_lS9_T4_lS8_S8_l
	.p2align	8
	.type	_ZN9rocsolver6v33100L16mfma_gemm_kernelIdlPKdPKPdS4_S6_EEv18rocblas_operation_S7_T0_S8_S8_T1_T2_lS8_S8_lT3_lS8_S8_lS9_T4_lS8_S8_l,@function
_ZN9rocsolver6v33100L16mfma_gemm_kernelIdlPKdPKPdS4_S6_EEv18rocblas_operation_S7_T0_S8_S8_T1_T2_lS8_S8_lT3_lS8_S8_lS9_T4_lS8_S8_l: ; @_ZN9rocsolver6v33100L16mfma_gemm_kernelIdlPKdPKPdS4_S6_EEv18rocblas_operation_S7_T0_S8_S8_T1_T2_lS8_S8_lT3_lS8_S8_lS9_T4_lS8_S8_l
; %bb.0:
	s_endpgm
	.section	.rodata,"a",@progbits
	.p2align	6, 0x0
	.amdhsa_kernel _ZN9rocsolver6v33100L16mfma_gemm_kernelIdlPKdPKPdS4_S6_EEv18rocblas_operation_S7_T0_S8_S8_T1_T2_lS8_S8_lT3_lS8_S8_lS9_T4_lS8_S8_l
		.amdhsa_group_segment_fixed_size 0
		.amdhsa_private_segment_fixed_size 0
		.amdhsa_kernarg_size 168
		.amdhsa_user_sgpr_count 2
		.amdhsa_user_sgpr_dispatch_ptr 0
		.amdhsa_user_sgpr_queue_ptr 0
		.amdhsa_user_sgpr_kernarg_segment_ptr 1
		.amdhsa_user_sgpr_dispatch_id 0
		.amdhsa_user_sgpr_kernarg_preload_length 0
		.amdhsa_user_sgpr_kernarg_preload_offset 0
		.amdhsa_user_sgpr_private_segment_size 0
		.amdhsa_wavefront_size32 1
		.amdhsa_uses_dynamic_stack 0
		.amdhsa_enable_private_segment 0
		.amdhsa_system_sgpr_workgroup_id_x 1
		.amdhsa_system_sgpr_workgroup_id_y 0
		.amdhsa_system_sgpr_workgroup_id_z 0
		.amdhsa_system_sgpr_workgroup_info 0
		.amdhsa_system_vgpr_workitem_id 0
		.amdhsa_next_free_vgpr 1
		.amdhsa_next_free_sgpr 1
		.amdhsa_named_barrier_count 0
		.amdhsa_reserve_vcc 0
		.amdhsa_float_round_mode_32 0
		.amdhsa_float_round_mode_16_64 0
		.amdhsa_float_denorm_mode_32 3
		.amdhsa_float_denorm_mode_16_64 3
		.amdhsa_fp16_overflow 0
		.amdhsa_memory_ordered 1
		.amdhsa_forward_progress 1
		.amdhsa_inst_pref_size 1
		.amdhsa_round_robin_scheduling 0
		.amdhsa_exception_fp_ieee_invalid_op 0
		.amdhsa_exception_fp_denorm_src 0
		.amdhsa_exception_fp_ieee_div_zero 0
		.amdhsa_exception_fp_ieee_overflow 0
		.amdhsa_exception_fp_ieee_underflow 0
		.amdhsa_exception_fp_ieee_inexact 0
		.amdhsa_exception_int_div_zero 0
	.end_amdhsa_kernel
	.section	.text._ZN9rocsolver6v33100L16mfma_gemm_kernelIdlPKdPKPdS4_S6_EEv18rocblas_operation_S7_T0_S8_S8_T1_T2_lS8_S8_lT3_lS8_S8_lS9_T4_lS8_S8_l,"axG",@progbits,_ZN9rocsolver6v33100L16mfma_gemm_kernelIdlPKdPKPdS4_S6_EEv18rocblas_operation_S7_T0_S8_S8_T1_T2_lS8_S8_lT3_lS8_S8_lS9_T4_lS8_S8_l,comdat
.Lfunc_end46:
	.size	_ZN9rocsolver6v33100L16mfma_gemm_kernelIdlPKdPKPdS4_S6_EEv18rocblas_operation_S7_T0_S8_S8_T1_T2_lS8_S8_lT3_lS8_S8_lS9_T4_lS8_S8_l, .Lfunc_end46-_ZN9rocsolver6v33100L16mfma_gemm_kernelIdlPKdPKPdS4_S6_EEv18rocblas_operation_S7_T0_S8_S8_T1_T2_lS8_S8_lT3_lS8_S8_lS9_T4_lS8_S8_l
                                        ; -- End function
	.set _ZN9rocsolver6v33100L16mfma_gemm_kernelIdlPKdPKPdS4_S6_EEv18rocblas_operation_S7_T0_S8_S8_T1_T2_lS8_S8_lT3_lS8_S8_lS9_T4_lS8_S8_l.num_vgpr, 0
	.set _ZN9rocsolver6v33100L16mfma_gemm_kernelIdlPKdPKPdS4_S6_EEv18rocblas_operation_S7_T0_S8_S8_T1_T2_lS8_S8_lT3_lS8_S8_lS9_T4_lS8_S8_l.num_agpr, 0
	.set _ZN9rocsolver6v33100L16mfma_gemm_kernelIdlPKdPKPdS4_S6_EEv18rocblas_operation_S7_T0_S8_S8_T1_T2_lS8_S8_lT3_lS8_S8_lS9_T4_lS8_S8_l.numbered_sgpr, 0
	.set _ZN9rocsolver6v33100L16mfma_gemm_kernelIdlPKdPKPdS4_S6_EEv18rocblas_operation_S7_T0_S8_S8_T1_T2_lS8_S8_lT3_lS8_S8_lS9_T4_lS8_S8_l.num_named_barrier, 0
	.set _ZN9rocsolver6v33100L16mfma_gemm_kernelIdlPKdPKPdS4_S6_EEv18rocblas_operation_S7_T0_S8_S8_T1_T2_lS8_S8_lT3_lS8_S8_lS9_T4_lS8_S8_l.private_seg_size, 0
	.set _ZN9rocsolver6v33100L16mfma_gemm_kernelIdlPKdPKPdS4_S6_EEv18rocblas_operation_S7_T0_S8_S8_T1_T2_lS8_S8_lT3_lS8_S8_lS9_T4_lS8_S8_l.uses_vcc, 0
	.set _ZN9rocsolver6v33100L16mfma_gemm_kernelIdlPKdPKPdS4_S6_EEv18rocblas_operation_S7_T0_S8_S8_T1_T2_lS8_S8_lT3_lS8_S8_lS9_T4_lS8_S8_l.uses_flat_scratch, 0
	.set _ZN9rocsolver6v33100L16mfma_gemm_kernelIdlPKdPKPdS4_S6_EEv18rocblas_operation_S7_T0_S8_S8_T1_T2_lS8_S8_lT3_lS8_S8_lS9_T4_lS8_S8_l.has_dyn_sized_stack, 0
	.set _ZN9rocsolver6v33100L16mfma_gemm_kernelIdlPKdPKPdS4_S6_EEv18rocblas_operation_S7_T0_S8_S8_T1_T2_lS8_S8_lT3_lS8_S8_lS9_T4_lS8_S8_l.has_recursion, 0
	.set _ZN9rocsolver6v33100L16mfma_gemm_kernelIdlPKdPKPdS4_S6_EEv18rocblas_operation_S7_T0_S8_S8_T1_T2_lS8_S8_lT3_lS8_S8_lS9_T4_lS8_S8_l.has_indirect_call, 0
	.section	.AMDGPU.csdata,"",@progbits
; Kernel info:
; codeLenInByte = 4
; TotalNumSgprs: 0
; NumVgprs: 0
; ScratchSize: 0
; MemoryBound: 0
; FloatMode: 240
; IeeeMode: 1
; LDSByteSize: 0 bytes/workgroup (compile time only)
; SGPRBlocks: 0
; VGPRBlocks: 0
; NumSGPRsForWavesPerEU: 1
; NumVGPRsForWavesPerEU: 1
; NamedBarCnt: 0
; Occupancy: 16
; WaveLimiterHint : 0
; COMPUTE_PGM_RSRC2:SCRATCH_EN: 0
; COMPUTE_PGM_RSRC2:USER_SGPR: 2
; COMPUTE_PGM_RSRC2:TRAP_HANDLER: 0
; COMPUTE_PGM_RSRC2:TGID_X_EN: 1
; COMPUTE_PGM_RSRC2:TGID_Y_EN: 0
; COMPUTE_PGM_RSRC2:TGID_Z_EN: 0
; COMPUTE_PGM_RSRC2:TIDIG_COMP_CNT: 0
	.section	.text._ZN9rocsolver6v33100L16mfma_gemm_kernelIdldPKPdS2_S4_EEv18rocblas_operation_S5_T0_S6_S6_T1_T2_lS6_S6_lT3_lS6_S6_lS7_T4_lS6_S6_l,"axG",@progbits,_ZN9rocsolver6v33100L16mfma_gemm_kernelIdldPKPdS2_S4_EEv18rocblas_operation_S5_T0_S6_S6_T1_T2_lS6_S6_lT3_lS6_S6_lS7_T4_lS6_S6_l,comdat
	.globl	_ZN9rocsolver6v33100L16mfma_gemm_kernelIdldPKPdS2_S4_EEv18rocblas_operation_S5_T0_S6_S6_T1_T2_lS6_S6_lT3_lS6_S6_lS7_T4_lS6_S6_l ; -- Begin function _ZN9rocsolver6v33100L16mfma_gemm_kernelIdldPKPdS2_S4_EEv18rocblas_operation_S5_T0_S6_S6_T1_T2_lS6_S6_lT3_lS6_S6_lS7_T4_lS6_S6_l
	.p2align	8
	.type	_ZN9rocsolver6v33100L16mfma_gemm_kernelIdldPKPdS2_S4_EEv18rocblas_operation_S5_T0_S6_S6_T1_T2_lS6_S6_lT3_lS6_S6_lS7_T4_lS6_S6_l,@function
_ZN9rocsolver6v33100L16mfma_gemm_kernelIdldPKPdS2_S4_EEv18rocblas_operation_S5_T0_S6_S6_T1_T2_lS6_S6_lT3_lS6_S6_lS7_T4_lS6_S6_l: ; @_ZN9rocsolver6v33100L16mfma_gemm_kernelIdldPKPdS2_S4_EEv18rocblas_operation_S5_T0_S6_S6_T1_T2_lS6_S6_lT3_lS6_S6_lS7_T4_lS6_S6_l
; %bb.0:
	s_endpgm
	.section	.rodata,"a",@progbits
	.p2align	6, 0x0
	.amdhsa_kernel _ZN9rocsolver6v33100L16mfma_gemm_kernelIdldPKPdS2_S4_EEv18rocblas_operation_S5_T0_S6_S6_T1_T2_lS6_S6_lT3_lS6_S6_lS7_T4_lS6_S6_l
		.amdhsa_group_segment_fixed_size 0
		.amdhsa_private_segment_fixed_size 0
		.amdhsa_kernarg_size 168
		.amdhsa_user_sgpr_count 2
		.amdhsa_user_sgpr_dispatch_ptr 0
		.amdhsa_user_sgpr_queue_ptr 0
		.amdhsa_user_sgpr_kernarg_segment_ptr 1
		.amdhsa_user_sgpr_dispatch_id 0
		.amdhsa_user_sgpr_kernarg_preload_length 0
		.amdhsa_user_sgpr_kernarg_preload_offset 0
		.amdhsa_user_sgpr_private_segment_size 0
		.amdhsa_wavefront_size32 1
		.amdhsa_uses_dynamic_stack 0
		.amdhsa_enable_private_segment 0
		.amdhsa_system_sgpr_workgroup_id_x 1
		.amdhsa_system_sgpr_workgroup_id_y 0
		.amdhsa_system_sgpr_workgroup_id_z 0
		.amdhsa_system_sgpr_workgroup_info 0
		.amdhsa_system_vgpr_workitem_id 0
		.amdhsa_next_free_vgpr 1
		.amdhsa_next_free_sgpr 1
		.amdhsa_named_barrier_count 0
		.amdhsa_reserve_vcc 0
		.amdhsa_float_round_mode_32 0
		.amdhsa_float_round_mode_16_64 0
		.amdhsa_float_denorm_mode_32 3
		.amdhsa_float_denorm_mode_16_64 3
		.amdhsa_fp16_overflow 0
		.amdhsa_memory_ordered 1
		.amdhsa_forward_progress 1
		.amdhsa_inst_pref_size 1
		.amdhsa_round_robin_scheduling 0
		.amdhsa_exception_fp_ieee_invalid_op 0
		.amdhsa_exception_fp_denorm_src 0
		.amdhsa_exception_fp_ieee_div_zero 0
		.amdhsa_exception_fp_ieee_overflow 0
		.amdhsa_exception_fp_ieee_underflow 0
		.amdhsa_exception_fp_ieee_inexact 0
		.amdhsa_exception_int_div_zero 0
	.end_amdhsa_kernel
	.section	.text._ZN9rocsolver6v33100L16mfma_gemm_kernelIdldPKPdS2_S4_EEv18rocblas_operation_S5_T0_S6_S6_T1_T2_lS6_S6_lT3_lS6_S6_lS7_T4_lS6_S6_l,"axG",@progbits,_ZN9rocsolver6v33100L16mfma_gemm_kernelIdldPKPdS2_S4_EEv18rocblas_operation_S5_T0_S6_S6_T1_T2_lS6_S6_lT3_lS6_S6_lS7_T4_lS6_S6_l,comdat
.Lfunc_end47:
	.size	_ZN9rocsolver6v33100L16mfma_gemm_kernelIdldPKPdS2_S4_EEv18rocblas_operation_S5_T0_S6_S6_T1_T2_lS6_S6_lT3_lS6_S6_lS7_T4_lS6_S6_l, .Lfunc_end47-_ZN9rocsolver6v33100L16mfma_gemm_kernelIdldPKPdS2_S4_EEv18rocblas_operation_S5_T0_S6_S6_T1_T2_lS6_S6_lT3_lS6_S6_lS7_T4_lS6_S6_l
                                        ; -- End function
	.set _ZN9rocsolver6v33100L16mfma_gemm_kernelIdldPKPdS2_S4_EEv18rocblas_operation_S5_T0_S6_S6_T1_T2_lS6_S6_lT3_lS6_S6_lS7_T4_lS6_S6_l.num_vgpr, 0
	.set _ZN9rocsolver6v33100L16mfma_gemm_kernelIdldPKPdS2_S4_EEv18rocblas_operation_S5_T0_S6_S6_T1_T2_lS6_S6_lT3_lS6_S6_lS7_T4_lS6_S6_l.num_agpr, 0
	.set _ZN9rocsolver6v33100L16mfma_gemm_kernelIdldPKPdS2_S4_EEv18rocblas_operation_S5_T0_S6_S6_T1_T2_lS6_S6_lT3_lS6_S6_lS7_T4_lS6_S6_l.numbered_sgpr, 0
	.set _ZN9rocsolver6v33100L16mfma_gemm_kernelIdldPKPdS2_S4_EEv18rocblas_operation_S5_T0_S6_S6_T1_T2_lS6_S6_lT3_lS6_S6_lS7_T4_lS6_S6_l.num_named_barrier, 0
	.set _ZN9rocsolver6v33100L16mfma_gemm_kernelIdldPKPdS2_S4_EEv18rocblas_operation_S5_T0_S6_S6_T1_T2_lS6_S6_lT3_lS6_S6_lS7_T4_lS6_S6_l.private_seg_size, 0
	.set _ZN9rocsolver6v33100L16mfma_gemm_kernelIdldPKPdS2_S4_EEv18rocblas_operation_S5_T0_S6_S6_T1_T2_lS6_S6_lT3_lS6_S6_lS7_T4_lS6_S6_l.uses_vcc, 0
	.set _ZN9rocsolver6v33100L16mfma_gemm_kernelIdldPKPdS2_S4_EEv18rocblas_operation_S5_T0_S6_S6_T1_T2_lS6_S6_lT3_lS6_S6_lS7_T4_lS6_S6_l.uses_flat_scratch, 0
	.set _ZN9rocsolver6v33100L16mfma_gemm_kernelIdldPKPdS2_S4_EEv18rocblas_operation_S5_T0_S6_S6_T1_T2_lS6_S6_lT3_lS6_S6_lS7_T4_lS6_S6_l.has_dyn_sized_stack, 0
	.set _ZN9rocsolver6v33100L16mfma_gemm_kernelIdldPKPdS2_S4_EEv18rocblas_operation_S5_T0_S6_S6_T1_T2_lS6_S6_lT3_lS6_S6_lS7_T4_lS6_S6_l.has_recursion, 0
	.set _ZN9rocsolver6v33100L16mfma_gemm_kernelIdldPKPdS2_S4_EEv18rocblas_operation_S5_T0_S6_S6_T1_T2_lS6_S6_lT3_lS6_S6_lS7_T4_lS6_S6_l.has_indirect_call, 0
	.section	.AMDGPU.csdata,"",@progbits
; Kernel info:
; codeLenInByte = 4
; TotalNumSgprs: 0
; NumVgprs: 0
; ScratchSize: 0
; MemoryBound: 0
; FloatMode: 240
; IeeeMode: 1
; LDSByteSize: 0 bytes/workgroup (compile time only)
; SGPRBlocks: 0
; VGPRBlocks: 0
; NumSGPRsForWavesPerEU: 1
; NumVGPRsForWavesPerEU: 1
; NamedBarCnt: 0
; Occupancy: 16
; WaveLimiterHint : 0
; COMPUTE_PGM_RSRC2:SCRATCH_EN: 0
; COMPUTE_PGM_RSRC2:USER_SGPR: 2
; COMPUTE_PGM_RSRC2:TRAP_HANDLER: 0
; COMPUTE_PGM_RSRC2:TGID_X_EN: 1
; COMPUTE_PGM_RSRC2:TGID_Y_EN: 0
; COMPUTE_PGM_RSRC2:TGID_Z_EN: 0
; COMPUTE_PGM_RSRC2:TIDIG_COMP_CNT: 0
	.section	.text._ZN9rocsolver6v33100L11gemm_kernelIdlPKdPKPdS4_S6_EEvT0_S7_S7_T1_bT2_lS7_S7_lbT3_lS7_S7_lS8_T4_lS7_S7_l,"axG",@progbits,_ZN9rocsolver6v33100L11gemm_kernelIdlPKdPKPdS4_S6_EEvT0_S7_S7_T1_bT2_lS7_S7_lbT3_lS7_S7_lS8_T4_lS7_S7_l,comdat
	.globl	_ZN9rocsolver6v33100L11gemm_kernelIdlPKdPKPdS4_S6_EEvT0_S7_S7_T1_bT2_lS7_S7_lbT3_lS7_S7_lS8_T4_lS7_S7_l ; -- Begin function _ZN9rocsolver6v33100L11gemm_kernelIdlPKdPKPdS4_S6_EEvT0_S7_S7_T1_bT2_lS7_S7_lbT3_lS7_S7_lS8_T4_lS7_S7_l
	.p2align	8
	.type	_ZN9rocsolver6v33100L11gemm_kernelIdlPKdPKPdS4_S6_EEvT0_S7_S7_T1_bT2_lS7_S7_lbT3_lS7_S7_lS8_T4_lS7_S7_l,@function
_ZN9rocsolver6v33100L11gemm_kernelIdlPKdPKPdS4_S6_EEvT0_S7_S7_T1_bT2_lS7_S7_lbT3_lS7_S7_lS8_T4_lS7_S7_l: ; @_ZN9rocsolver6v33100L11gemm_kernelIdlPKdPKPdS4_S6_EEvT0_S7_S7_T1_bT2_lS7_S7_lbT3_lS7_S7_lS8_T4_lS7_S7_l
; %bb.0:
	s_load_b32 s2, s[0:1], 0xbc
	s_bfe_u32 s4, ttmp6, 0x40010
	s_bfe_u32 s7, ttmp6, 0x4000c
	s_and_b32 s3, ttmp7, 0xffff
	s_add_co_i32 s4, s4, 1
	s_add_co_i32 s7, s7, 1
	s_bfe_u32 s5, ttmp6, 0x40004
	s_and_b32 s6, ttmp6, 15
	s_mul_i32 s4, s3, s4
	s_mul_i32 s7, ttmp9, s7
	s_getreg_b32 s24, hwreg(HW_REG_IB_STS2, 6, 4)
	v_mov_b32_e32 v5, 0
	v_and_b32_e32 v4, 0x3ff, v0
	s_add_co_i32 s5, s5, s4
	s_add_co_i32 s6, s6, s7
	s_load_b256 s[16:23], s[0:1], 0x0
	s_wait_kmcnt 0x0
	s_lshr_b32 s4, s2, 16
	s_and_b32 s2, s2, 0xffff
	s_cmp_eq_u32 s24, 0
	s_cselect_b32 s6, ttmp9, s6
	s_delay_alu instid0(SALU_CYCLE_1) | instskip(SKIP_3) | instid1(VALU_DEP_1)
	v_mad_nc_u64_u32 v[2:3], s2, s6, v[4:5]
	v_bfe_u32 v4, v0, 10, 10
	s_cselect_b32 s2, s3, s5
	s_mov_b32 s3, 0
	v_mad_nc_u64_u32 v[0:1], s4, s2, v[4:5]
	s_delay_alu instid0(VALU_DEP_3) | instskip(NEXT) | instid1(VALU_DEP_2)
	v_cmp_gt_i64_e32 vcc_lo, s[16:17], v[2:3]
	v_cmp_gt_i64_e64 s2, s[18:19], v[0:1]
	s_and_b32 s2, vcc_lo, s2
	s_delay_alu instid0(SALU_CYCLE_1)
	s_and_saveexec_b32 s4, s2
	s_cbranch_execz .LBB48_6
; %bb.1:
	s_load_b512 s[4:19], s[0:1], 0x58
	s_bfe_u32 s2, ttmp6, 0x40014
	s_lshr_b32 s25, ttmp7, 16
	s_add_co_i32 s2, s2, 1
	v_cmp_lt_i64_e64 s26, s[20:21], 1
	s_mul_i32 s2, s25, s2
	s_bfe_u32 s27, ttmp6, 0x40008
	s_delay_alu instid0(SALU_CYCLE_1)
	s_add_co_i32 s27, s27, s2
	s_cmp_eq_u32 s24, 0
	s_cselect_b32 s2, s25, s27
	s_and_b32 vcc_lo, exec_lo, s26
	s_cbranch_vccnz .LBB48_4
; %bb.2:
	s_load_b256 s[24:31], s[0:1], 0x28
	s_wait_kmcnt 0x0
	v_mul_u64_e32 v[8:9], s[10:11], v[0:1]
	s_mul_u64 s[12:13], s[12:13], s[2:3]
	s_lshl_b64 s[6:7], s[6:7], 3
	s_lshl_b64 s[12:13], s[12:13], 3
	v_mov_b64_e32 v[4:5], 0
	s_add_nc_u64 s[4:5], s[4:5], s[12:13]
	s_delay_alu instid0(SALU_CYCLE_1)
	s_add_nc_u64 s[4:5], s[4:5], s[6:7]
	v_mul_u64_e32 v[6:7], s[28:29], v[2:3]
	s_load_b64 s[10:11], s[24:25], s2 offset:0x0 scale_offset
	s_wait_xcnt 0x0
	s_lshl_b64 s[24:25], s[26:27], 3
	s_lshl_b64 s[6:7], s[30:31], 3
	s_delay_alu instid0(VALU_DEP_3)
	v_lshl_add_u64 v[8:9], v[8:9], 3, s[4:5]
	s_lshl_b64 s[4:5], s[8:9], 3
	s_wait_kmcnt 0x0
	s_add_nc_u64 s[10:11], s[10:11], s[24:25]
	s_delay_alu instid0(VALU_DEP_2) | instid1(SALU_CYCLE_1)
	v_lshl_add_u64 v[6:7], v[6:7], 3, s[10:11]
.LBB48_3:                               ; =>This Inner Loop Header: Depth=1
	flat_load_b64 v[10:11], v[6:7]
	global_load_b64 v[12:13], v[8:9], off
	s_wait_xcnt 0x0
	v_add_nc_u64_e32 v[8:9], s[4:5], v[8:9]
	v_add_nc_u64_e32 v[6:7], s[6:7], v[6:7]
	s_add_nc_u64 s[20:21], s[20:21], -1
	s_delay_alu instid0(SALU_CYCLE_1)
	s_cmp_eq_u64 s[20:21], 0
	s_wait_loadcnt_dscnt 0x0
	v_fmac_f64_e32 v[4:5], v[10:11], v[12:13]
	s_cbranch_scc0 .LBB48_3
	s_branch .LBB48_5
.LBB48_4:
	v_mov_b64_e32 v[4:5], 0
.LBB48_5:
	s_wait_kmcnt 0x0
	s_load_b64 s[4:5], s[22:23], 0x0
	s_load_b64 s[6:7], s[14:15], 0x0
	s_load_b64 s[8:9], s[16:17], s2 offset:0x0 scale_offset
                                        ; kill: killed $sgpr2
                                        ; kill: killed $sgpr14_sgpr15 killed $sgpr16_sgpr17
                                        ; kill: killed $sgpr22_sgpr23
	s_wait_xcnt 0x0
	s_load_b128 s[12:15], s[0:1], 0x98
	s_wait_xcnt 0x0
	s_lshl_b64 s[0:1], s[18:19], 3
	s_wait_kmcnt 0x0
	s_add_nc_u64 s[0:1], s[8:9], s[0:1]
	v_mul_u64_e32 v[2:3], s[12:13], v[2:3]
	v_mul_u64_e32 v[0:1], s[14:15], v[0:1]
	s_delay_alu instid0(VALU_DEP_2) | instskip(NEXT) | instid1(VALU_DEP_1)
	v_lshl_add_u64 v[2:3], v[2:3], 3, s[0:1]
	v_lshl_add_u64 v[0:1], v[0:1], 3, v[2:3]
	flat_load_b64 v[2:3], v[0:1]
	s_wait_loadcnt_dscnt 0x0
	v_mul_f64_e32 v[2:3], s[6:7], v[2:3]
	s_delay_alu instid0(VALU_DEP_1)
	v_fmac_f64_e32 v[2:3], s[4:5], v[4:5]
	flat_store_b64 v[0:1], v[2:3]
.LBB48_6:
	s_endpgm
	.section	.rodata,"a",@progbits
	.p2align	6, 0x0
	.amdhsa_kernel _ZN9rocsolver6v33100L11gemm_kernelIdlPKdPKPdS4_S6_EEvT0_S7_S7_T1_bT2_lS7_S7_lbT3_lS7_S7_lS8_T4_lS7_S7_l
		.amdhsa_group_segment_fixed_size 0
		.amdhsa_private_segment_fixed_size 0
		.amdhsa_kernarg_size 432
		.amdhsa_user_sgpr_count 2
		.amdhsa_user_sgpr_dispatch_ptr 0
		.amdhsa_user_sgpr_queue_ptr 0
		.amdhsa_user_sgpr_kernarg_segment_ptr 1
		.amdhsa_user_sgpr_dispatch_id 0
		.amdhsa_user_sgpr_kernarg_preload_length 0
		.amdhsa_user_sgpr_kernarg_preload_offset 0
		.amdhsa_user_sgpr_private_segment_size 0
		.amdhsa_wavefront_size32 1
		.amdhsa_uses_dynamic_stack 0
		.amdhsa_enable_private_segment 0
		.amdhsa_system_sgpr_workgroup_id_x 1
		.amdhsa_system_sgpr_workgroup_id_y 1
		.amdhsa_system_sgpr_workgroup_id_z 1
		.amdhsa_system_sgpr_workgroup_info 0
		.amdhsa_system_vgpr_workitem_id 1
		.amdhsa_next_free_vgpr 14
		.amdhsa_next_free_sgpr 32
		.amdhsa_named_barrier_count 0
		.amdhsa_reserve_vcc 1
		.amdhsa_float_round_mode_32 0
		.amdhsa_float_round_mode_16_64 0
		.amdhsa_float_denorm_mode_32 3
		.amdhsa_float_denorm_mode_16_64 3
		.amdhsa_fp16_overflow 0
		.amdhsa_memory_ordered 1
		.amdhsa_forward_progress 1
		.amdhsa_inst_pref_size 5
		.amdhsa_round_robin_scheduling 0
		.amdhsa_exception_fp_ieee_invalid_op 0
		.amdhsa_exception_fp_denorm_src 0
		.amdhsa_exception_fp_ieee_div_zero 0
		.amdhsa_exception_fp_ieee_overflow 0
		.amdhsa_exception_fp_ieee_underflow 0
		.amdhsa_exception_fp_ieee_inexact 0
		.amdhsa_exception_int_div_zero 0
	.end_amdhsa_kernel
	.section	.text._ZN9rocsolver6v33100L11gemm_kernelIdlPKdPKPdS4_S6_EEvT0_S7_S7_T1_bT2_lS7_S7_lbT3_lS7_S7_lS8_T4_lS7_S7_l,"axG",@progbits,_ZN9rocsolver6v33100L11gemm_kernelIdlPKdPKPdS4_S6_EEvT0_S7_S7_T1_bT2_lS7_S7_lbT3_lS7_S7_lS8_T4_lS7_S7_l,comdat
.Lfunc_end48:
	.size	_ZN9rocsolver6v33100L11gemm_kernelIdlPKdPKPdS4_S6_EEvT0_S7_S7_T1_bT2_lS7_S7_lbT3_lS7_S7_lS8_T4_lS7_S7_l, .Lfunc_end48-_ZN9rocsolver6v33100L11gemm_kernelIdlPKdPKPdS4_S6_EEvT0_S7_S7_T1_bT2_lS7_S7_lbT3_lS7_S7_lS8_T4_lS7_S7_l
                                        ; -- End function
	.set _ZN9rocsolver6v33100L11gemm_kernelIdlPKdPKPdS4_S6_EEvT0_S7_S7_T1_bT2_lS7_S7_lbT3_lS7_S7_lS8_T4_lS7_S7_l.num_vgpr, 14
	.set _ZN9rocsolver6v33100L11gemm_kernelIdlPKdPKPdS4_S6_EEvT0_S7_S7_T1_bT2_lS7_S7_lbT3_lS7_S7_lS8_T4_lS7_S7_l.num_agpr, 0
	.set _ZN9rocsolver6v33100L11gemm_kernelIdlPKdPKPdS4_S6_EEvT0_S7_S7_T1_bT2_lS7_S7_lbT3_lS7_S7_lS8_T4_lS7_S7_l.numbered_sgpr, 32
	.set _ZN9rocsolver6v33100L11gemm_kernelIdlPKdPKPdS4_S6_EEvT0_S7_S7_T1_bT2_lS7_S7_lbT3_lS7_S7_lS8_T4_lS7_S7_l.num_named_barrier, 0
	.set _ZN9rocsolver6v33100L11gemm_kernelIdlPKdPKPdS4_S6_EEvT0_S7_S7_T1_bT2_lS7_S7_lbT3_lS7_S7_lS8_T4_lS7_S7_l.private_seg_size, 0
	.set _ZN9rocsolver6v33100L11gemm_kernelIdlPKdPKPdS4_S6_EEvT0_S7_S7_T1_bT2_lS7_S7_lbT3_lS7_S7_lS8_T4_lS7_S7_l.uses_vcc, 1
	.set _ZN9rocsolver6v33100L11gemm_kernelIdlPKdPKPdS4_S6_EEvT0_S7_S7_T1_bT2_lS7_S7_lbT3_lS7_S7_lS8_T4_lS7_S7_l.uses_flat_scratch, 0
	.set _ZN9rocsolver6v33100L11gemm_kernelIdlPKdPKPdS4_S6_EEvT0_S7_S7_T1_bT2_lS7_S7_lbT3_lS7_S7_lS8_T4_lS7_S7_l.has_dyn_sized_stack, 0
	.set _ZN9rocsolver6v33100L11gemm_kernelIdlPKdPKPdS4_S6_EEvT0_S7_S7_T1_bT2_lS7_S7_lbT3_lS7_S7_lS8_T4_lS7_S7_l.has_recursion, 0
	.set _ZN9rocsolver6v33100L11gemm_kernelIdlPKdPKPdS4_S6_EEvT0_S7_S7_T1_bT2_lS7_S7_lbT3_lS7_S7_lS8_T4_lS7_S7_l.has_indirect_call, 0
	.section	.AMDGPU.csdata,"",@progbits
; Kernel info:
; codeLenInByte = 552
; TotalNumSgprs: 34
; NumVgprs: 14
; ScratchSize: 0
; MemoryBound: 0
; FloatMode: 240
; IeeeMode: 1
; LDSByteSize: 0 bytes/workgroup (compile time only)
; SGPRBlocks: 0
; VGPRBlocks: 0
; NumSGPRsForWavesPerEU: 34
; NumVGPRsForWavesPerEU: 14
; NamedBarCnt: 0
; Occupancy: 16
; WaveLimiterHint : 1
; COMPUTE_PGM_RSRC2:SCRATCH_EN: 0
; COMPUTE_PGM_RSRC2:USER_SGPR: 2
; COMPUTE_PGM_RSRC2:TRAP_HANDLER: 0
; COMPUTE_PGM_RSRC2:TGID_X_EN: 1
; COMPUTE_PGM_RSRC2:TGID_Y_EN: 1
; COMPUTE_PGM_RSRC2:TGID_Z_EN: 1
; COMPUTE_PGM_RSRC2:TIDIG_COMP_CNT: 1
	.section	.text._ZN9rocsolver6v33100L11gemm_kernelIdldPKPdS2_S4_EEvT0_S5_S5_T1_bT2_lS5_S5_lbT3_lS5_S5_lS6_T4_lS5_S5_l,"axG",@progbits,_ZN9rocsolver6v33100L11gemm_kernelIdldPKPdS2_S4_EEvT0_S5_S5_T1_bT2_lS5_S5_lbT3_lS5_S5_lS6_T4_lS5_S5_l,comdat
	.globl	_ZN9rocsolver6v33100L11gemm_kernelIdldPKPdS2_S4_EEvT0_S5_S5_T1_bT2_lS5_S5_lbT3_lS5_S5_lS6_T4_lS5_S5_l ; -- Begin function _ZN9rocsolver6v33100L11gemm_kernelIdldPKPdS2_S4_EEvT0_S5_S5_T1_bT2_lS5_S5_lbT3_lS5_S5_lS6_T4_lS5_S5_l
	.p2align	8
	.type	_ZN9rocsolver6v33100L11gemm_kernelIdldPKPdS2_S4_EEvT0_S5_S5_T1_bT2_lS5_S5_lbT3_lS5_S5_lS6_T4_lS5_S5_l,@function
_ZN9rocsolver6v33100L11gemm_kernelIdldPKPdS2_S4_EEvT0_S5_S5_T1_bT2_lS5_S5_lbT3_lS5_S5_lS6_T4_lS5_S5_l: ; @_ZN9rocsolver6v33100L11gemm_kernelIdldPKPdS2_S4_EEvT0_S5_S5_T1_bT2_lS5_S5_lbT3_lS5_S5_lS6_T4_lS5_S5_l
; %bb.0:
	s_load_b32 s2, s[0:1], 0xbc
	s_bfe_u32 s4, ttmp6, 0x40010
	s_bfe_u32 s7, ttmp6, 0x4000c
	s_and_b32 s3, ttmp7, 0xffff
	s_add_co_i32 s4, s4, 1
	s_add_co_i32 s7, s7, 1
	s_bfe_u32 s5, ttmp6, 0x40004
	s_and_b32 s6, ttmp6, 15
	s_mul_i32 s4, s3, s4
	s_mul_i32 s7, ttmp9, s7
	s_getreg_b32 s24, hwreg(HW_REG_IB_STS2, 6, 4)
	v_mov_b32_e32 v5, 0
	v_and_b32_e32 v4, 0x3ff, v0
	s_add_co_i32 s5, s5, s4
	s_add_co_i32 s6, s6, s7
	s_load_b256 s[16:23], s[0:1], 0x0
	s_wait_kmcnt 0x0
	s_lshr_b32 s4, s2, 16
	s_and_b32 s2, s2, 0xffff
	s_cmp_eq_u32 s24, 0
	s_cselect_b32 s6, ttmp9, s6
	s_delay_alu instid0(SALU_CYCLE_1) | instskip(SKIP_3) | instid1(VALU_DEP_1)
	v_mad_nc_u64_u32 v[2:3], s2, s6, v[4:5]
	v_bfe_u32 v4, v0, 10, 10
	s_cselect_b32 s2, s3, s5
	s_mov_b32 s3, 0
	v_mad_nc_u64_u32 v[0:1], s4, s2, v[4:5]
	s_delay_alu instid0(VALU_DEP_3) | instskip(NEXT) | instid1(VALU_DEP_2)
	v_cmp_gt_i64_e32 vcc_lo, s[16:17], v[2:3]
	v_cmp_gt_i64_e64 s2, s[18:19], v[0:1]
	s_and_b32 s2, vcc_lo, s2
	s_delay_alu instid0(SALU_CYCLE_1)
	s_and_saveexec_b32 s4, s2
	s_cbranch_execz .LBB49_6
; %bb.1:
	s_load_b512 s[4:19], s[0:1], 0x58
	s_bfe_u32 s2, ttmp6, 0x40014
	s_lshr_b32 s25, ttmp7, 16
	s_add_co_i32 s2, s2, 1
	v_cmp_lt_i64_e64 s26, s[20:21], 1
	s_mul_i32 s2, s25, s2
	s_bfe_u32 s27, ttmp6, 0x40008
	s_delay_alu instid0(SALU_CYCLE_1)
	s_add_co_i32 s27, s27, s2
	s_cmp_eq_u32 s24, 0
	s_cselect_b32 s2, s25, s27
	s_and_b32 vcc_lo, exec_lo, s26
	s_cbranch_vccnz .LBB49_4
; %bb.2:
	s_load_b256 s[24:31], s[0:1], 0x28
	s_wait_kmcnt 0x0
	v_mul_u64_e32 v[8:9], s[10:11], v[0:1]
	s_mul_u64 s[12:13], s[12:13], s[2:3]
	s_lshl_b64 s[6:7], s[6:7], 3
	s_lshl_b64 s[12:13], s[12:13], 3
	v_mov_b64_e32 v[4:5], 0
	s_add_nc_u64 s[4:5], s[4:5], s[12:13]
	s_delay_alu instid0(SALU_CYCLE_1)
	s_add_nc_u64 s[4:5], s[4:5], s[6:7]
	v_mul_u64_e32 v[6:7], s[28:29], v[2:3]
	s_load_b64 s[10:11], s[24:25], s2 offset:0x0 scale_offset
	s_wait_xcnt 0x0
	s_lshl_b64 s[24:25], s[26:27], 3
	s_lshl_b64 s[6:7], s[30:31], 3
	s_delay_alu instid0(VALU_DEP_3)
	v_lshl_add_u64 v[8:9], v[8:9], 3, s[4:5]
	s_lshl_b64 s[4:5], s[8:9], 3
	s_wait_kmcnt 0x0
	s_add_nc_u64 s[10:11], s[10:11], s[24:25]
	s_delay_alu instid0(VALU_DEP_2) | instid1(SALU_CYCLE_1)
	v_lshl_add_u64 v[6:7], v[6:7], 3, s[10:11]
.LBB49_3:                               ; =>This Inner Loop Header: Depth=1
	flat_load_b64 v[10:11], v[6:7]
	global_load_b64 v[12:13], v[8:9], off
	s_wait_xcnt 0x0
	v_add_nc_u64_e32 v[8:9], s[4:5], v[8:9]
	v_add_nc_u64_e32 v[6:7], s[6:7], v[6:7]
	s_add_nc_u64 s[20:21], s[20:21], -1
	s_delay_alu instid0(SALU_CYCLE_1)
	s_cmp_eq_u64 s[20:21], 0
	s_wait_loadcnt_dscnt 0x0
	v_fmac_f64_e32 v[4:5], v[10:11], v[12:13]
	s_cbranch_scc0 .LBB49_3
	s_branch .LBB49_5
.LBB49_4:
	v_mov_b64_e32 v[4:5], 0
.LBB49_5:
	s_wait_kmcnt 0x0
	s_load_b64 s[2:3], s[16:17], s2 offset:0x0 scale_offset
	s_nop 0
	s_load_b128 s[4:7], s[0:1], 0x98
	s_wait_xcnt 0x0
	s_lshl_b64 s[0:1], s[18:19], 3
	s_wait_kmcnt 0x0
	s_add_nc_u64 s[0:1], s[2:3], s[0:1]
	v_mul_u64_e32 v[2:3], s[4:5], v[2:3]
	v_mul_u64_e32 v[0:1], s[6:7], v[0:1]
	s_delay_alu instid0(VALU_DEP_2) | instskip(NEXT) | instid1(VALU_DEP_1)
	v_lshl_add_u64 v[2:3], v[2:3], 3, s[0:1]
	v_lshl_add_u64 v[0:1], v[0:1], 3, v[2:3]
	flat_load_b64 v[2:3], v[0:1]
	s_wait_loadcnt_dscnt 0x0
	v_mul_f64_e32 v[2:3], s[14:15], v[2:3]
	s_delay_alu instid0(VALU_DEP_1)
	v_fmac_f64_e32 v[2:3], s[22:23], v[4:5]
	flat_store_b64 v[0:1], v[2:3]
.LBB49_6:
	s_endpgm
	.section	.rodata,"a",@progbits
	.p2align	6, 0x0
	.amdhsa_kernel _ZN9rocsolver6v33100L11gemm_kernelIdldPKPdS2_S4_EEvT0_S5_S5_T1_bT2_lS5_S5_lbT3_lS5_S5_lS6_T4_lS5_S5_l
		.amdhsa_group_segment_fixed_size 0
		.amdhsa_private_segment_fixed_size 0
		.amdhsa_kernarg_size 432
		.amdhsa_user_sgpr_count 2
		.amdhsa_user_sgpr_dispatch_ptr 0
		.amdhsa_user_sgpr_queue_ptr 0
		.amdhsa_user_sgpr_kernarg_segment_ptr 1
		.amdhsa_user_sgpr_dispatch_id 0
		.amdhsa_user_sgpr_kernarg_preload_length 0
		.amdhsa_user_sgpr_kernarg_preload_offset 0
		.amdhsa_user_sgpr_private_segment_size 0
		.amdhsa_wavefront_size32 1
		.amdhsa_uses_dynamic_stack 0
		.amdhsa_enable_private_segment 0
		.amdhsa_system_sgpr_workgroup_id_x 1
		.amdhsa_system_sgpr_workgroup_id_y 1
		.amdhsa_system_sgpr_workgroup_id_z 1
		.amdhsa_system_sgpr_workgroup_info 0
		.amdhsa_system_vgpr_workitem_id 1
		.amdhsa_next_free_vgpr 14
		.amdhsa_next_free_sgpr 32
		.amdhsa_named_barrier_count 0
		.amdhsa_reserve_vcc 1
		.amdhsa_float_round_mode_32 0
		.amdhsa_float_round_mode_16_64 0
		.amdhsa_float_denorm_mode_32 3
		.amdhsa_float_denorm_mode_16_64 3
		.amdhsa_fp16_overflow 0
		.amdhsa_memory_ordered 1
		.amdhsa_forward_progress 1
		.amdhsa_inst_pref_size 5
		.amdhsa_round_robin_scheduling 0
		.amdhsa_exception_fp_ieee_invalid_op 0
		.amdhsa_exception_fp_denorm_src 0
		.amdhsa_exception_fp_ieee_div_zero 0
		.amdhsa_exception_fp_ieee_overflow 0
		.amdhsa_exception_fp_ieee_underflow 0
		.amdhsa_exception_fp_ieee_inexact 0
		.amdhsa_exception_int_div_zero 0
	.end_amdhsa_kernel
	.section	.text._ZN9rocsolver6v33100L11gemm_kernelIdldPKPdS2_S4_EEvT0_S5_S5_T1_bT2_lS5_S5_lbT3_lS5_S5_lS6_T4_lS5_S5_l,"axG",@progbits,_ZN9rocsolver6v33100L11gemm_kernelIdldPKPdS2_S4_EEvT0_S5_S5_T1_bT2_lS5_S5_lbT3_lS5_S5_lS6_T4_lS5_S5_l,comdat
.Lfunc_end49:
	.size	_ZN9rocsolver6v33100L11gemm_kernelIdldPKPdS2_S4_EEvT0_S5_S5_T1_bT2_lS5_S5_lbT3_lS5_S5_lS6_T4_lS5_S5_l, .Lfunc_end49-_ZN9rocsolver6v33100L11gemm_kernelIdldPKPdS2_S4_EEvT0_S5_S5_T1_bT2_lS5_S5_lbT3_lS5_S5_lS6_T4_lS5_S5_l
                                        ; -- End function
	.set _ZN9rocsolver6v33100L11gemm_kernelIdldPKPdS2_S4_EEvT0_S5_S5_T1_bT2_lS5_S5_lbT3_lS5_S5_lS6_T4_lS5_S5_l.num_vgpr, 14
	.set _ZN9rocsolver6v33100L11gemm_kernelIdldPKPdS2_S4_EEvT0_S5_S5_T1_bT2_lS5_S5_lbT3_lS5_S5_lS6_T4_lS5_S5_l.num_agpr, 0
	.set _ZN9rocsolver6v33100L11gemm_kernelIdldPKPdS2_S4_EEvT0_S5_S5_T1_bT2_lS5_S5_lbT3_lS5_S5_lS6_T4_lS5_S5_l.numbered_sgpr, 32
	.set _ZN9rocsolver6v33100L11gemm_kernelIdldPKPdS2_S4_EEvT0_S5_S5_T1_bT2_lS5_S5_lbT3_lS5_S5_lS6_T4_lS5_S5_l.num_named_barrier, 0
	.set _ZN9rocsolver6v33100L11gemm_kernelIdldPKPdS2_S4_EEvT0_S5_S5_T1_bT2_lS5_S5_lbT3_lS5_S5_lS6_T4_lS5_S5_l.private_seg_size, 0
	.set _ZN9rocsolver6v33100L11gemm_kernelIdldPKPdS2_S4_EEvT0_S5_S5_T1_bT2_lS5_S5_lbT3_lS5_S5_lS6_T4_lS5_S5_l.uses_vcc, 1
	.set _ZN9rocsolver6v33100L11gemm_kernelIdldPKPdS2_S4_EEvT0_S5_S5_T1_bT2_lS5_S5_lbT3_lS5_S5_lS6_T4_lS5_S5_l.uses_flat_scratch, 0
	.set _ZN9rocsolver6v33100L11gemm_kernelIdldPKPdS2_S4_EEvT0_S5_S5_T1_bT2_lS5_S5_lbT3_lS5_S5_lS6_T4_lS5_S5_l.has_dyn_sized_stack, 0
	.set _ZN9rocsolver6v33100L11gemm_kernelIdldPKPdS2_S4_EEvT0_S5_S5_T1_bT2_lS5_S5_lbT3_lS5_S5_lS6_T4_lS5_S5_l.has_recursion, 0
	.set _ZN9rocsolver6v33100L11gemm_kernelIdldPKPdS2_S4_EEvT0_S5_S5_T1_bT2_lS5_S5_lbT3_lS5_S5_lS6_T4_lS5_S5_l.has_indirect_call, 0
	.section	.AMDGPU.csdata,"",@progbits
; Kernel info:
; codeLenInByte = 536
; TotalNumSgprs: 34
; NumVgprs: 14
; ScratchSize: 0
; MemoryBound: 0
; FloatMode: 240
; IeeeMode: 1
; LDSByteSize: 0 bytes/workgroup (compile time only)
; SGPRBlocks: 0
; VGPRBlocks: 0
; NumSGPRsForWavesPerEU: 34
; NumVGPRsForWavesPerEU: 14
; NamedBarCnt: 0
; Occupancy: 16
; WaveLimiterHint : 1
; COMPUTE_PGM_RSRC2:SCRATCH_EN: 0
; COMPUTE_PGM_RSRC2:USER_SGPR: 2
; COMPUTE_PGM_RSRC2:TRAP_HANDLER: 0
; COMPUTE_PGM_RSRC2:TGID_X_EN: 1
; COMPUTE_PGM_RSRC2:TGID_Y_EN: 1
; COMPUTE_PGM_RSRC2:TGID_Z_EN: 1
; COMPUTE_PGM_RSRC2:TIDIG_COMP_CNT: 1
	.section	.text._ZN9rocsolver6v33100L16mfma_gemm_kernelIdlPKdPKPdS6_S4_EEv18rocblas_operation_S7_T0_S8_S8_T1_T2_lS8_S8_lT3_lS8_S8_lS9_T4_lS8_S8_l,"axG",@progbits,_ZN9rocsolver6v33100L16mfma_gemm_kernelIdlPKdPKPdS6_S4_EEv18rocblas_operation_S7_T0_S8_S8_T1_T2_lS8_S8_lT3_lS8_S8_lS9_T4_lS8_S8_l,comdat
	.globl	_ZN9rocsolver6v33100L16mfma_gemm_kernelIdlPKdPKPdS6_S4_EEv18rocblas_operation_S7_T0_S8_S8_T1_T2_lS8_S8_lT3_lS8_S8_lS9_T4_lS8_S8_l ; -- Begin function _ZN9rocsolver6v33100L16mfma_gemm_kernelIdlPKdPKPdS6_S4_EEv18rocblas_operation_S7_T0_S8_S8_T1_T2_lS8_S8_lT3_lS8_S8_lS9_T4_lS8_S8_l
	.p2align	8
	.type	_ZN9rocsolver6v33100L16mfma_gemm_kernelIdlPKdPKPdS6_S4_EEv18rocblas_operation_S7_T0_S8_S8_T1_T2_lS8_S8_lT3_lS8_S8_lS9_T4_lS8_S8_l,@function
_ZN9rocsolver6v33100L16mfma_gemm_kernelIdlPKdPKPdS6_S4_EEv18rocblas_operation_S7_T0_S8_S8_T1_T2_lS8_S8_lT3_lS8_S8_lS9_T4_lS8_S8_l: ; @_ZN9rocsolver6v33100L16mfma_gemm_kernelIdlPKdPKPdS6_S4_EEv18rocblas_operation_S7_T0_S8_S8_T1_T2_lS8_S8_lT3_lS8_S8_lS9_T4_lS8_S8_l
; %bb.0:
	s_endpgm
	.section	.rodata,"a",@progbits
	.p2align	6, 0x0
	.amdhsa_kernel _ZN9rocsolver6v33100L16mfma_gemm_kernelIdlPKdPKPdS6_S4_EEv18rocblas_operation_S7_T0_S8_S8_T1_T2_lS8_S8_lT3_lS8_S8_lS9_T4_lS8_S8_l
		.amdhsa_group_segment_fixed_size 0
		.amdhsa_private_segment_fixed_size 0
		.amdhsa_kernarg_size 168
		.amdhsa_user_sgpr_count 2
		.amdhsa_user_sgpr_dispatch_ptr 0
		.amdhsa_user_sgpr_queue_ptr 0
		.amdhsa_user_sgpr_kernarg_segment_ptr 1
		.amdhsa_user_sgpr_dispatch_id 0
		.amdhsa_user_sgpr_kernarg_preload_length 0
		.amdhsa_user_sgpr_kernarg_preload_offset 0
		.amdhsa_user_sgpr_private_segment_size 0
		.amdhsa_wavefront_size32 1
		.amdhsa_uses_dynamic_stack 0
		.amdhsa_enable_private_segment 0
		.amdhsa_system_sgpr_workgroup_id_x 1
		.amdhsa_system_sgpr_workgroup_id_y 0
		.amdhsa_system_sgpr_workgroup_id_z 0
		.amdhsa_system_sgpr_workgroup_info 0
		.amdhsa_system_vgpr_workitem_id 0
		.amdhsa_next_free_vgpr 1
		.amdhsa_next_free_sgpr 1
		.amdhsa_named_barrier_count 0
		.amdhsa_reserve_vcc 0
		.amdhsa_float_round_mode_32 0
		.amdhsa_float_round_mode_16_64 0
		.amdhsa_float_denorm_mode_32 3
		.amdhsa_float_denorm_mode_16_64 3
		.amdhsa_fp16_overflow 0
		.amdhsa_memory_ordered 1
		.amdhsa_forward_progress 1
		.amdhsa_inst_pref_size 1
		.amdhsa_round_robin_scheduling 0
		.amdhsa_exception_fp_ieee_invalid_op 0
		.amdhsa_exception_fp_denorm_src 0
		.amdhsa_exception_fp_ieee_div_zero 0
		.amdhsa_exception_fp_ieee_overflow 0
		.amdhsa_exception_fp_ieee_underflow 0
		.amdhsa_exception_fp_ieee_inexact 0
		.amdhsa_exception_int_div_zero 0
	.end_amdhsa_kernel
	.section	.text._ZN9rocsolver6v33100L16mfma_gemm_kernelIdlPKdPKPdS6_S4_EEv18rocblas_operation_S7_T0_S8_S8_T1_T2_lS8_S8_lT3_lS8_S8_lS9_T4_lS8_S8_l,"axG",@progbits,_ZN9rocsolver6v33100L16mfma_gemm_kernelIdlPKdPKPdS6_S4_EEv18rocblas_operation_S7_T0_S8_S8_T1_T2_lS8_S8_lT3_lS8_S8_lS9_T4_lS8_S8_l,comdat
.Lfunc_end50:
	.size	_ZN9rocsolver6v33100L16mfma_gemm_kernelIdlPKdPKPdS6_S4_EEv18rocblas_operation_S7_T0_S8_S8_T1_T2_lS8_S8_lT3_lS8_S8_lS9_T4_lS8_S8_l, .Lfunc_end50-_ZN9rocsolver6v33100L16mfma_gemm_kernelIdlPKdPKPdS6_S4_EEv18rocblas_operation_S7_T0_S8_S8_T1_T2_lS8_S8_lT3_lS8_S8_lS9_T4_lS8_S8_l
                                        ; -- End function
	.set _ZN9rocsolver6v33100L16mfma_gemm_kernelIdlPKdPKPdS6_S4_EEv18rocblas_operation_S7_T0_S8_S8_T1_T2_lS8_S8_lT3_lS8_S8_lS9_T4_lS8_S8_l.num_vgpr, 0
	.set _ZN9rocsolver6v33100L16mfma_gemm_kernelIdlPKdPKPdS6_S4_EEv18rocblas_operation_S7_T0_S8_S8_T1_T2_lS8_S8_lT3_lS8_S8_lS9_T4_lS8_S8_l.num_agpr, 0
	.set _ZN9rocsolver6v33100L16mfma_gemm_kernelIdlPKdPKPdS6_S4_EEv18rocblas_operation_S7_T0_S8_S8_T1_T2_lS8_S8_lT3_lS8_S8_lS9_T4_lS8_S8_l.numbered_sgpr, 0
	.set _ZN9rocsolver6v33100L16mfma_gemm_kernelIdlPKdPKPdS6_S4_EEv18rocblas_operation_S7_T0_S8_S8_T1_T2_lS8_S8_lT3_lS8_S8_lS9_T4_lS8_S8_l.num_named_barrier, 0
	.set _ZN9rocsolver6v33100L16mfma_gemm_kernelIdlPKdPKPdS6_S4_EEv18rocblas_operation_S7_T0_S8_S8_T1_T2_lS8_S8_lT3_lS8_S8_lS9_T4_lS8_S8_l.private_seg_size, 0
	.set _ZN9rocsolver6v33100L16mfma_gemm_kernelIdlPKdPKPdS6_S4_EEv18rocblas_operation_S7_T0_S8_S8_T1_T2_lS8_S8_lT3_lS8_S8_lS9_T4_lS8_S8_l.uses_vcc, 0
	.set _ZN9rocsolver6v33100L16mfma_gemm_kernelIdlPKdPKPdS6_S4_EEv18rocblas_operation_S7_T0_S8_S8_T1_T2_lS8_S8_lT3_lS8_S8_lS9_T4_lS8_S8_l.uses_flat_scratch, 0
	.set _ZN9rocsolver6v33100L16mfma_gemm_kernelIdlPKdPKPdS6_S4_EEv18rocblas_operation_S7_T0_S8_S8_T1_T2_lS8_S8_lT3_lS8_S8_lS9_T4_lS8_S8_l.has_dyn_sized_stack, 0
	.set _ZN9rocsolver6v33100L16mfma_gemm_kernelIdlPKdPKPdS6_S4_EEv18rocblas_operation_S7_T0_S8_S8_T1_T2_lS8_S8_lT3_lS8_S8_lS9_T4_lS8_S8_l.has_recursion, 0
	.set _ZN9rocsolver6v33100L16mfma_gemm_kernelIdlPKdPKPdS6_S4_EEv18rocblas_operation_S7_T0_S8_S8_T1_T2_lS8_S8_lT3_lS8_S8_lS9_T4_lS8_S8_l.has_indirect_call, 0
	.section	.AMDGPU.csdata,"",@progbits
; Kernel info:
; codeLenInByte = 4
; TotalNumSgprs: 0
; NumVgprs: 0
; ScratchSize: 0
; MemoryBound: 0
; FloatMode: 240
; IeeeMode: 1
; LDSByteSize: 0 bytes/workgroup (compile time only)
; SGPRBlocks: 0
; VGPRBlocks: 0
; NumSGPRsForWavesPerEU: 1
; NumVGPRsForWavesPerEU: 1
; NamedBarCnt: 0
; Occupancy: 16
; WaveLimiterHint : 0
; COMPUTE_PGM_RSRC2:SCRATCH_EN: 0
; COMPUTE_PGM_RSRC2:USER_SGPR: 2
; COMPUTE_PGM_RSRC2:TRAP_HANDLER: 0
; COMPUTE_PGM_RSRC2:TGID_X_EN: 1
; COMPUTE_PGM_RSRC2:TGID_Y_EN: 0
; COMPUTE_PGM_RSRC2:TGID_Z_EN: 0
; COMPUTE_PGM_RSRC2:TIDIG_COMP_CNT: 0
	.section	.text._ZN9rocsolver6v33100L16mfma_gemm_kernelIdldPKPdS4_S2_EEv18rocblas_operation_S5_T0_S6_S6_T1_T2_lS6_S6_lT3_lS6_S6_lS7_T4_lS6_S6_l,"axG",@progbits,_ZN9rocsolver6v33100L16mfma_gemm_kernelIdldPKPdS4_S2_EEv18rocblas_operation_S5_T0_S6_S6_T1_T2_lS6_S6_lT3_lS6_S6_lS7_T4_lS6_S6_l,comdat
	.globl	_ZN9rocsolver6v33100L16mfma_gemm_kernelIdldPKPdS4_S2_EEv18rocblas_operation_S5_T0_S6_S6_T1_T2_lS6_S6_lT3_lS6_S6_lS7_T4_lS6_S6_l ; -- Begin function _ZN9rocsolver6v33100L16mfma_gemm_kernelIdldPKPdS4_S2_EEv18rocblas_operation_S5_T0_S6_S6_T1_T2_lS6_S6_lT3_lS6_S6_lS7_T4_lS6_S6_l
	.p2align	8
	.type	_ZN9rocsolver6v33100L16mfma_gemm_kernelIdldPKPdS4_S2_EEv18rocblas_operation_S5_T0_S6_S6_T1_T2_lS6_S6_lT3_lS6_S6_lS7_T4_lS6_S6_l,@function
_ZN9rocsolver6v33100L16mfma_gemm_kernelIdldPKPdS4_S2_EEv18rocblas_operation_S5_T0_S6_S6_T1_T2_lS6_S6_lT3_lS6_S6_lS7_T4_lS6_S6_l: ; @_ZN9rocsolver6v33100L16mfma_gemm_kernelIdldPKPdS4_S2_EEv18rocblas_operation_S5_T0_S6_S6_T1_T2_lS6_S6_lT3_lS6_S6_lS7_T4_lS6_S6_l
; %bb.0:
	s_endpgm
	.section	.rodata,"a",@progbits
	.p2align	6, 0x0
	.amdhsa_kernel _ZN9rocsolver6v33100L16mfma_gemm_kernelIdldPKPdS4_S2_EEv18rocblas_operation_S5_T0_S6_S6_T1_T2_lS6_S6_lT3_lS6_S6_lS7_T4_lS6_S6_l
		.amdhsa_group_segment_fixed_size 0
		.amdhsa_private_segment_fixed_size 0
		.amdhsa_kernarg_size 168
		.amdhsa_user_sgpr_count 2
		.amdhsa_user_sgpr_dispatch_ptr 0
		.amdhsa_user_sgpr_queue_ptr 0
		.amdhsa_user_sgpr_kernarg_segment_ptr 1
		.amdhsa_user_sgpr_dispatch_id 0
		.amdhsa_user_sgpr_kernarg_preload_length 0
		.amdhsa_user_sgpr_kernarg_preload_offset 0
		.amdhsa_user_sgpr_private_segment_size 0
		.amdhsa_wavefront_size32 1
		.amdhsa_uses_dynamic_stack 0
		.amdhsa_enable_private_segment 0
		.amdhsa_system_sgpr_workgroup_id_x 1
		.amdhsa_system_sgpr_workgroup_id_y 0
		.amdhsa_system_sgpr_workgroup_id_z 0
		.amdhsa_system_sgpr_workgroup_info 0
		.amdhsa_system_vgpr_workitem_id 0
		.amdhsa_next_free_vgpr 1
		.amdhsa_next_free_sgpr 1
		.amdhsa_named_barrier_count 0
		.amdhsa_reserve_vcc 0
		.amdhsa_float_round_mode_32 0
		.amdhsa_float_round_mode_16_64 0
		.amdhsa_float_denorm_mode_32 3
		.amdhsa_float_denorm_mode_16_64 3
		.amdhsa_fp16_overflow 0
		.amdhsa_memory_ordered 1
		.amdhsa_forward_progress 1
		.amdhsa_inst_pref_size 1
		.amdhsa_round_robin_scheduling 0
		.amdhsa_exception_fp_ieee_invalid_op 0
		.amdhsa_exception_fp_denorm_src 0
		.amdhsa_exception_fp_ieee_div_zero 0
		.amdhsa_exception_fp_ieee_overflow 0
		.amdhsa_exception_fp_ieee_underflow 0
		.amdhsa_exception_fp_ieee_inexact 0
		.amdhsa_exception_int_div_zero 0
	.end_amdhsa_kernel
	.section	.text._ZN9rocsolver6v33100L16mfma_gemm_kernelIdldPKPdS4_S2_EEv18rocblas_operation_S5_T0_S6_S6_T1_T2_lS6_S6_lT3_lS6_S6_lS7_T4_lS6_S6_l,"axG",@progbits,_ZN9rocsolver6v33100L16mfma_gemm_kernelIdldPKPdS4_S2_EEv18rocblas_operation_S5_T0_S6_S6_T1_T2_lS6_S6_lT3_lS6_S6_lS7_T4_lS6_S6_l,comdat
.Lfunc_end51:
	.size	_ZN9rocsolver6v33100L16mfma_gemm_kernelIdldPKPdS4_S2_EEv18rocblas_operation_S5_T0_S6_S6_T1_T2_lS6_S6_lT3_lS6_S6_lS7_T4_lS6_S6_l, .Lfunc_end51-_ZN9rocsolver6v33100L16mfma_gemm_kernelIdldPKPdS4_S2_EEv18rocblas_operation_S5_T0_S6_S6_T1_T2_lS6_S6_lT3_lS6_S6_lS7_T4_lS6_S6_l
                                        ; -- End function
	.set _ZN9rocsolver6v33100L16mfma_gemm_kernelIdldPKPdS4_S2_EEv18rocblas_operation_S5_T0_S6_S6_T1_T2_lS6_S6_lT3_lS6_S6_lS7_T4_lS6_S6_l.num_vgpr, 0
	.set _ZN9rocsolver6v33100L16mfma_gemm_kernelIdldPKPdS4_S2_EEv18rocblas_operation_S5_T0_S6_S6_T1_T2_lS6_S6_lT3_lS6_S6_lS7_T4_lS6_S6_l.num_agpr, 0
	.set _ZN9rocsolver6v33100L16mfma_gemm_kernelIdldPKPdS4_S2_EEv18rocblas_operation_S5_T0_S6_S6_T1_T2_lS6_S6_lT3_lS6_S6_lS7_T4_lS6_S6_l.numbered_sgpr, 0
	.set _ZN9rocsolver6v33100L16mfma_gemm_kernelIdldPKPdS4_S2_EEv18rocblas_operation_S5_T0_S6_S6_T1_T2_lS6_S6_lT3_lS6_S6_lS7_T4_lS6_S6_l.num_named_barrier, 0
	.set _ZN9rocsolver6v33100L16mfma_gemm_kernelIdldPKPdS4_S2_EEv18rocblas_operation_S5_T0_S6_S6_T1_T2_lS6_S6_lT3_lS6_S6_lS7_T4_lS6_S6_l.private_seg_size, 0
	.set _ZN9rocsolver6v33100L16mfma_gemm_kernelIdldPKPdS4_S2_EEv18rocblas_operation_S5_T0_S6_S6_T1_T2_lS6_S6_lT3_lS6_S6_lS7_T4_lS6_S6_l.uses_vcc, 0
	.set _ZN9rocsolver6v33100L16mfma_gemm_kernelIdldPKPdS4_S2_EEv18rocblas_operation_S5_T0_S6_S6_T1_T2_lS6_S6_lT3_lS6_S6_lS7_T4_lS6_S6_l.uses_flat_scratch, 0
	.set _ZN9rocsolver6v33100L16mfma_gemm_kernelIdldPKPdS4_S2_EEv18rocblas_operation_S5_T0_S6_S6_T1_T2_lS6_S6_lT3_lS6_S6_lS7_T4_lS6_S6_l.has_dyn_sized_stack, 0
	.set _ZN9rocsolver6v33100L16mfma_gemm_kernelIdldPKPdS4_S2_EEv18rocblas_operation_S5_T0_S6_S6_T1_T2_lS6_S6_lT3_lS6_S6_lS7_T4_lS6_S6_l.has_recursion, 0
	.set _ZN9rocsolver6v33100L16mfma_gemm_kernelIdldPKPdS4_S2_EEv18rocblas_operation_S5_T0_S6_S6_T1_T2_lS6_S6_lT3_lS6_S6_lS7_T4_lS6_S6_l.has_indirect_call, 0
	.section	.AMDGPU.csdata,"",@progbits
; Kernel info:
; codeLenInByte = 4
; TotalNumSgprs: 0
; NumVgprs: 0
; ScratchSize: 0
; MemoryBound: 0
; FloatMode: 240
; IeeeMode: 1
; LDSByteSize: 0 bytes/workgroup (compile time only)
; SGPRBlocks: 0
; VGPRBlocks: 0
; NumSGPRsForWavesPerEU: 1
; NumVGPRsForWavesPerEU: 1
; NamedBarCnt: 0
; Occupancy: 16
; WaveLimiterHint : 0
; COMPUTE_PGM_RSRC2:SCRATCH_EN: 0
; COMPUTE_PGM_RSRC2:USER_SGPR: 2
; COMPUTE_PGM_RSRC2:TRAP_HANDLER: 0
; COMPUTE_PGM_RSRC2:TGID_X_EN: 1
; COMPUTE_PGM_RSRC2:TGID_Y_EN: 0
; COMPUTE_PGM_RSRC2:TGID_Z_EN: 0
; COMPUTE_PGM_RSRC2:TIDIG_COMP_CNT: 0
	.section	.text._ZN9rocsolver6v33100L11gemm_kernelIdlPKdPKPdS6_S4_EEvT0_S7_S7_T1_bT2_lS7_S7_lbT3_lS7_S7_lS8_T4_lS7_S7_l,"axG",@progbits,_ZN9rocsolver6v33100L11gemm_kernelIdlPKdPKPdS6_S4_EEvT0_S7_S7_T1_bT2_lS7_S7_lbT3_lS7_S7_lS8_T4_lS7_S7_l,comdat
	.globl	_ZN9rocsolver6v33100L11gemm_kernelIdlPKdPKPdS6_S4_EEvT0_S7_S7_T1_bT2_lS7_S7_lbT3_lS7_S7_lS8_T4_lS7_S7_l ; -- Begin function _ZN9rocsolver6v33100L11gemm_kernelIdlPKdPKPdS6_S4_EEvT0_S7_S7_T1_bT2_lS7_S7_lbT3_lS7_S7_lS8_T4_lS7_S7_l
	.p2align	8
	.type	_ZN9rocsolver6v33100L11gemm_kernelIdlPKdPKPdS6_S4_EEvT0_S7_S7_T1_bT2_lS7_S7_lbT3_lS7_S7_lS8_T4_lS7_S7_l,@function
_ZN9rocsolver6v33100L11gemm_kernelIdlPKdPKPdS6_S4_EEvT0_S7_S7_T1_bT2_lS7_S7_lbT3_lS7_S7_lS8_T4_lS7_S7_l: ; @_ZN9rocsolver6v33100L11gemm_kernelIdlPKdPKPdS6_S4_EEvT0_S7_S7_T1_bT2_lS7_S7_lbT3_lS7_S7_lS8_T4_lS7_S7_l
; %bb.0:
	s_load_b32 s2, s[0:1], 0xbc
	s_bfe_u32 s12, ttmp6, 0x40010
	s_bfe_u32 s15, ttmp6, 0x4000c
	s_and_b32 s3, ttmp7, 0xffff
	s_add_co_i32 s12, s12, 1
	s_add_co_i32 s15, s15, 1
	s_bfe_u32 s13, ttmp6, 0x40004
	s_and_b32 s14, ttmp6, 15
	s_mul_i32 s12, s3, s12
	s_mul_i32 s15, ttmp9, s15
	s_getreg_b32 s20, hwreg(HW_REG_IB_STS2, 6, 4)
	v_mov_b32_e32 v5, 0
	v_and_b32_e32 v4, 0x3ff, v0
	s_add_co_i32 s13, s13, s12
	s_add_co_i32 s14, s14, s15
	s_load_b256 s[4:11], s[0:1], 0x0
	s_wait_kmcnt 0x0
	s_lshr_b32 s12, s2, 16
	s_and_b32 s2, s2, 0xffff
	s_cmp_eq_u32 s20, 0
	s_cselect_b32 s14, ttmp9, s14
	s_delay_alu instid0(SALU_CYCLE_1) | instskip(SKIP_3) | instid1(VALU_DEP_1)
	v_mad_nc_u64_u32 v[2:3], s2, s14, v[4:5]
	v_bfe_u32 v4, v0, 10, 10
	s_cselect_b32 s2, s3, s13
	s_mov_b32 s3, 0
	v_mad_nc_u64_u32 v[0:1], s12, s2, v[4:5]
	s_delay_alu instid0(VALU_DEP_3) | instskip(NEXT) | instid1(VALU_DEP_2)
	v_cmp_gt_i64_e32 vcc_lo, s[4:5], v[2:3]
	v_cmp_gt_i64_e64 s2, s[6:7], v[0:1]
	s_and_b32 s2, vcc_lo, s2
	s_delay_alu instid0(SALU_CYCLE_1)
	s_and_saveexec_b32 s4, s2
	s_cbranch_execz .LBB52_6
; %bb.1:
	s_clause 0x1
	s_load_b256 s[12:19], s[0:1], 0x80
	s_load_b128 s[4:7], s[0:1], 0xa0
	s_bfe_u32 s2, ttmp6, 0x40014
	s_lshr_b32 s21, ttmp7, 16
	s_add_co_i32 s2, s2, 1
	v_cmp_lt_i64_e64 s22, s[8:9], 1
	s_mul_i32 s2, s21, s2
	s_bfe_u32 s23, ttmp6, 0x40008
	s_delay_alu instid0(SALU_CYCLE_1)
	s_add_co_i32 s23, s23, s2
	s_cmp_eq_u32 s20, 0
	s_cselect_b32 s2, s21, s23
	s_and_b32 vcc_lo, exec_lo, s22
	s_cbranch_vccnz .LBB52_4
; %bb.2:
	s_clause 0x1
	s_load_b256 s[20:27], s[0:1], 0x28
	s_load_b256 s[36:43], s[0:1], 0x58
	v_mov_b64_e32 v[4:5], 0
	s_wait_kmcnt 0x0
	v_mul_u64_e32 v[6:7], s[24:25], v[2:3]
	v_mul_u64_e32 v[8:9], s[42:43], v[0:1]
	s_load_b64 s[0:1], s[20:21], s2 offset:0x0 scale_offset
	s_load_b64 s[24:25], s[36:37], s2 offset:0x0 scale_offset
	s_wait_xcnt 0x0
	s_lshl_b64 s[20:21], s[22:23], 3
	s_lshl_b64 s[22:23], s[38:39], 3
	s_wait_kmcnt 0x0
	s_add_nc_u64 s[0:1], s[0:1], s[20:21]
	s_add_nc_u64 s[20:21], s[24:25], s[22:23]
	s_delay_alu instid0(VALU_DEP_2) | instskip(NEXT) | instid1(VALU_DEP_2)
	v_lshl_add_u64 v[6:7], v[6:7], 3, s[0:1]
	v_lshl_add_u64 v[8:9], v[8:9], 3, s[20:21]
	s_lshl_b64 s[0:1], s[40:41], 3
	s_lshl_b64 s[20:21], s[26:27], 3
.LBB52_3:                               ; =>This Inner Loop Header: Depth=1
	flat_load_b64 v[10:11], v[6:7]
	flat_load_b64 v[12:13], v[8:9]
	s_wait_xcnt 0x0
	v_add_nc_u64_e32 v[8:9], s[0:1], v[8:9]
	v_add_nc_u64_e32 v[6:7], s[20:21], v[6:7]
	s_add_nc_u64 s[8:9], s[8:9], -1
	s_delay_alu instid0(SALU_CYCLE_1)
	s_cmp_eq_u64 s[8:9], 0
	s_wait_loadcnt_dscnt 0x0
	v_fmac_f64_e32 v[4:5], v[10:11], v[12:13]
	s_cbranch_scc0 .LBB52_3
	s_branch .LBB52_5
.LBB52_4:
	v_mov_b64_e32 v[4:5], 0
.LBB52_5:
	s_wait_kmcnt 0x0
	v_mul_u64_e32 v[2:3], s[18:19], v[2:3]
	v_mul_u64_e32 v[0:1], s[4:5], v[0:1]
	s_mul_u64 s[2:3], s[6:7], s[2:3]
	s_lshl_b64 s[4:5], s[16:17], 3
	s_lshl_b64 s[2:3], s[2:3], 3
	s_load_b64 s[0:1], s[10:11], 0x0
	s_load_b64 s[8:9], s[12:13], 0x0
	s_add_nc_u64 s[2:3], s[14:15], s[2:3]
	s_delay_alu instid0(SALU_CYCLE_1)
	s_add_nc_u64 s[2:3], s[2:3], s[4:5]
	s_delay_alu instid0(VALU_DEP_2) | instid1(SALU_CYCLE_1)
	v_lshl_add_u64 v[2:3], v[2:3], 3, s[2:3]
	s_delay_alu instid0(VALU_DEP_1) | instskip(SKIP_4) | instid1(VALU_DEP_1)
	v_lshl_add_u64 v[0:1], v[0:1], 3, v[2:3]
	global_load_b64 v[2:3], v[0:1], off
	s_wait_loadcnt 0x0
	s_wait_kmcnt 0x0
	v_mul_f64_e32 v[2:3], s[8:9], v[2:3]
	v_fmac_f64_e32 v[2:3], s[0:1], v[4:5]
	global_store_b64 v[0:1], v[2:3], off
.LBB52_6:
	s_endpgm
	.section	.rodata,"a",@progbits
	.p2align	6, 0x0
	.amdhsa_kernel _ZN9rocsolver6v33100L11gemm_kernelIdlPKdPKPdS6_S4_EEvT0_S7_S7_T1_bT2_lS7_S7_lbT3_lS7_S7_lS8_T4_lS7_S7_l
		.amdhsa_group_segment_fixed_size 0
		.amdhsa_private_segment_fixed_size 0
		.amdhsa_kernarg_size 432
		.amdhsa_user_sgpr_count 2
		.amdhsa_user_sgpr_dispatch_ptr 0
		.amdhsa_user_sgpr_queue_ptr 0
		.amdhsa_user_sgpr_kernarg_segment_ptr 1
		.amdhsa_user_sgpr_dispatch_id 0
		.amdhsa_user_sgpr_kernarg_preload_length 0
		.amdhsa_user_sgpr_kernarg_preload_offset 0
		.amdhsa_user_sgpr_private_segment_size 0
		.amdhsa_wavefront_size32 1
		.amdhsa_uses_dynamic_stack 0
		.amdhsa_enable_private_segment 0
		.amdhsa_system_sgpr_workgroup_id_x 1
		.amdhsa_system_sgpr_workgroup_id_y 1
		.amdhsa_system_sgpr_workgroup_id_z 1
		.amdhsa_system_sgpr_workgroup_info 0
		.amdhsa_system_vgpr_workitem_id 1
		.amdhsa_next_free_vgpr 14
		.amdhsa_next_free_sgpr 44
		.amdhsa_named_barrier_count 0
		.amdhsa_reserve_vcc 1
		.amdhsa_float_round_mode_32 0
		.amdhsa_float_round_mode_16_64 0
		.amdhsa_float_denorm_mode_32 3
		.amdhsa_float_denorm_mode_16_64 3
		.amdhsa_fp16_overflow 0
		.amdhsa_memory_ordered 1
		.amdhsa_forward_progress 1
		.amdhsa_inst_pref_size 5
		.amdhsa_round_robin_scheduling 0
		.amdhsa_exception_fp_ieee_invalid_op 0
		.amdhsa_exception_fp_denorm_src 0
		.amdhsa_exception_fp_ieee_div_zero 0
		.amdhsa_exception_fp_ieee_overflow 0
		.amdhsa_exception_fp_ieee_underflow 0
		.amdhsa_exception_fp_ieee_inexact 0
		.amdhsa_exception_int_div_zero 0
	.end_amdhsa_kernel
	.section	.text._ZN9rocsolver6v33100L11gemm_kernelIdlPKdPKPdS6_S4_EEvT0_S7_S7_T1_bT2_lS7_S7_lbT3_lS7_S7_lS8_T4_lS7_S7_l,"axG",@progbits,_ZN9rocsolver6v33100L11gemm_kernelIdlPKdPKPdS6_S4_EEvT0_S7_S7_T1_bT2_lS7_S7_lbT3_lS7_S7_lS8_T4_lS7_S7_l,comdat
.Lfunc_end52:
	.size	_ZN9rocsolver6v33100L11gemm_kernelIdlPKdPKPdS6_S4_EEvT0_S7_S7_T1_bT2_lS7_S7_lbT3_lS7_S7_lS8_T4_lS7_S7_l, .Lfunc_end52-_ZN9rocsolver6v33100L11gemm_kernelIdlPKdPKPdS6_S4_EEvT0_S7_S7_T1_bT2_lS7_S7_lbT3_lS7_S7_lS8_T4_lS7_S7_l
                                        ; -- End function
	.set _ZN9rocsolver6v33100L11gemm_kernelIdlPKdPKPdS6_S4_EEvT0_S7_S7_T1_bT2_lS7_S7_lbT3_lS7_S7_lS8_T4_lS7_S7_l.num_vgpr, 14
	.set _ZN9rocsolver6v33100L11gemm_kernelIdlPKdPKPdS6_S4_EEvT0_S7_S7_T1_bT2_lS7_S7_lbT3_lS7_S7_lS8_T4_lS7_S7_l.num_agpr, 0
	.set _ZN9rocsolver6v33100L11gemm_kernelIdlPKdPKPdS6_S4_EEvT0_S7_S7_T1_bT2_lS7_S7_lbT3_lS7_S7_lS8_T4_lS7_S7_l.numbered_sgpr, 44
	.set _ZN9rocsolver6v33100L11gemm_kernelIdlPKdPKPdS6_S4_EEvT0_S7_S7_T1_bT2_lS7_S7_lbT3_lS7_S7_lS8_T4_lS7_S7_l.num_named_barrier, 0
	.set _ZN9rocsolver6v33100L11gemm_kernelIdlPKdPKPdS6_S4_EEvT0_S7_S7_T1_bT2_lS7_S7_lbT3_lS7_S7_lS8_T4_lS7_S7_l.private_seg_size, 0
	.set _ZN9rocsolver6v33100L11gemm_kernelIdlPKdPKPdS6_S4_EEvT0_S7_S7_T1_bT2_lS7_S7_lbT3_lS7_S7_lS8_T4_lS7_S7_l.uses_vcc, 1
	.set _ZN9rocsolver6v33100L11gemm_kernelIdlPKdPKPdS6_S4_EEvT0_S7_S7_T1_bT2_lS7_S7_lbT3_lS7_S7_lS8_T4_lS7_S7_l.uses_flat_scratch, 0
	.set _ZN9rocsolver6v33100L11gemm_kernelIdlPKdPKPdS6_S4_EEvT0_S7_S7_T1_bT2_lS7_S7_lbT3_lS7_S7_lS8_T4_lS7_S7_l.has_dyn_sized_stack, 0
	.set _ZN9rocsolver6v33100L11gemm_kernelIdlPKdPKPdS6_S4_EEvT0_S7_S7_T1_bT2_lS7_S7_lbT3_lS7_S7_lS8_T4_lS7_S7_l.has_recursion, 0
	.set _ZN9rocsolver6v33100L11gemm_kernelIdlPKdPKPdS6_S4_EEvT0_S7_S7_T1_bT2_lS7_S7_lbT3_lS7_S7_lS8_T4_lS7_S7_l.has_indirect_call, 0
	.section	.AMDGPU.csdata,"",@progbits
; Kernel info:
; codeLenInByte = 556
; TotalNumSgprs: 46
; NumVgprs: 14
; ScratchSize: 0
; MemoryBound: 0
; FloatMode: 240
; IeeeMode: 1
; LDSByteSize: 0 bytes/workgroup (compile time only)
; SGPRBlocks: 0
; VGPRBlocks: 0
; NumSGPRsForWavesPerEU: 46
; NumVGPRsForWavesPerEU: 14
; NamedBarCnt: 0
; Occupancy: 16
; WaveLimiterHint : 0
; COMPUTE_PGM_RSRC2:SCRATCH_EN: 0
; COMPUTE_PGM_RSRC2:USER_SGPR: 2
; COMPUTE_PGM_RSRC2:TRAP_HANDLER: 0
; COMPUTE_PGM_RSRC2:TGID_X_EN: 1
; COMPUTE_PGM_RSRC2:TGID_Y_EN: 1
; COMPUTE_PGM_RSRC2:TGID_Z_EN: 1
; COMPUTE_PGM_RSRC2:TIDIG_COMP_CNT: 1
	.section	.text._ZN9rocsolver6v33100L11gemm_kernelIdldPKPdS4_S2_EEvT0_S5_S5_T1_bT2_lS5_S5_lbT3_lS5_S5_lS6_T4_lS5_S5_l,"axG",@progbits,_ZN9rocsolver6v33100L11gemm_kernelIdldPKPdS4_S2_EEvT0_S5_S5_T1_bT2_lS5_S5_lbT3_lS5_S5_lS6_T4_lS5_S5_l,comdat
	.globl	_ZN9rocsolver6v33100L11gemm_kernelIdldPKPdS4_S2_EEvT0_S5_S5_T1_bT2_lS5_S5_lbT3_lS5_S5_lS6_T4_lS5_S5_l ; -- Begin function _ZN9rocsolver6v33100L11gemm_kernelIdldPKPdS4_S2_EEvT0_S5_S5_T1_bT2_lS5_S5_lbT3_lS5_S5_lS6_T4_lS5_S5_l
	.p2align	8
	.type	_ZN9rocsolver6v33100L11gemm_kernelIdldPKPdS4_S2_EEvT0_S5_S5_T1_bT2_lS5_S5_lbT3_lS5_S5_lS6_T4_lS5_S5_l,@function
_ZN9rocsolver6v33100L11gemm_kernelIdldPKPdS4_S2_EEvT0_S5_S5_T1_bT2_lS5_S5_lbT3_lS5_S5_lS6_T4_lS5_S5_l: ; @_ZN9rocsolver6v33100L11gemm_kernelIdldPKPdS4_S2_EEvT0_S5_S5_T1_bT2_lS5_S5_lbT3_lS5_S5_lS6_T4_lS5_S5_l
; %bb.0:
	s_load_b32 s2, s[0:1], 0xbc
	s_bfe_u32 s13, ttmp6, 0x40010
	s_bfe_u32 s16, ttmp6, 0x4000c
	s_and_b32 s3, ttmp7, 0xffff
	s_add_co_i32 s13, s13, 1
	s_add_co_i32 s16, s16, 1
	s_bfe_u32 s14, ttmp6, 0x40004
	s_and_b32 s15, ttmp6, 15
	s_mul_i32 s13, s3, s13
	s_mul_i32 s16, ttmp9, s16
	s_getreg_b32 s12, hwreg(HW_REG_IB_STS2, 6, 4)
	v_mov_b32_e32 v5, 0
	v_and_b32_e32 v4, 0x3ff, v0
	s_add_co_i32 s14, s14, s13
	s_add_co_i32 s15, s15, s16
	s_load_b256 s[4:11], s[0:1], 0x0
	s_wait_kmcnt 0x0
	s_lshr_b32 s13, s2, 16
	s_and_b32 s2, s2, 0xffff
	s_cmp_eq_u32 s12, 0
	s_cselect_b32 s15, ttmp9, s15
	s_delay_alu instid0(SALU_CYCLE_1) | instskip(SKIP_3) | instid1(VALU_DEP_1)
	v_mad_nc_u64_u32 v[2:3], s2, s15, v[4:5]
	v_bfe_u32 v4, v0, 10, 10
	s_cselect_b32 s2, s3, s14
	s_mov_b32 s3, 0
	v_mad_nc_u64_u32 v[0:1], s13, s2, v[4:5]
	s_delay_alu instid0(VALU_DEP_3) | instskip(NEXT) | instid1(VALU_DEP_2)
	v_cmp_gt_i64_e32 vcc_lo, s[4:5], v[2:3]
	v_cmp_gt_i64_e64 s2, s[6:7], v[0:1]
	s_and_b32 s2, vcc_lo, s2
	s_delay_alu instid0(SALU_CYCLE_1)
	s_and_saveexec_b32 s4, s2
	s_cbranch_execz .LBB53_6
; %bb.1:
	s_bfe_u32 s2, ttmp6, 0x40014
	s_lshr_b32 s4, ttmp7, 16
	s_add_co_i32 s2, s2, 1
	v_cmp_lt_i64_e64 s6, s[8:9], 1
	s_bfe_u32 s5, ttmp6, 0x40008
	s_mul_i32 s2, s4, s2
	s_delay_alu instid0(SALU_CYCLE_1)
	s_add_co_i32 s5, s5, s2
	s_cmp_eq_u32 s12, 0
	s_cselect_b32 s2, s4, s5
	s_and_b32 vcc_lo, exec_lo, s6
	s_cbranch_vccnz .LBB53_4
; %bb.2:
	s_clause 0x1
	s_load_b256 s[12:19], s[0:1], 0x28
	s_load_b256 s[20:27], s[0:1], 0x58
	v_mov_b64_e32 v[4:5], 0
	s_wait_kmcnt 0x0
	s_load_b64 s[4:5], s[12:13], s2 offset:0x0 scale_offset
	s_load_b64 s[6:7], s[20:21], s2 offset:0x0 scale_offset
	v_mul_u64_e32 v[6:7], s[16:17], v[2:3]
	v_mul_u64_e32 v[8:9], s[26:27], v[0:1]
	s_wait_xcnt 0x0
	s_lshl_b64 s[12:13], s[14:15], 3
	s_lshl_b64 s[14:15], s[22:23], 3
	s_wait_kmcnt 0x0
	s_add_nc_u64 s[4:5], s[4:5], s[12:13]
	s_add_nc_u64 s[6:7], s[6:7], s[14:15]
	s_delay_alu instid0(VALU_DEP_2) | instskip(NEXT) | instid1(VALU_DEP_2)
	v_lshl_add_u64 v[6:7], v[6:7], 3, s[4:5]
	v_lshl_add_u64 v[8:9], v[8:9], 3, s[6:7]
	s_lshl_b64 s[4:5], s[24:25], 3
	s_lshl_b64 s[6:7], s[18:19], 3
.LBB53_3:                               ; =>This Inner Loop Header: Depth=1
	flat_load_b64 v[10:11], v[6:7]
	flat_load_b64 v[12:13], v[8:9]
	s_wait_xcnt 0x0
	v_add_nc_u64_e32 v[8:9], s[4:5], v[8:9]
	v_add_nc_u64_e32 v[6:7], s[6:7], v[6:7]
	s_add_nc_u64 s[8:9], s[8:9], -1
	s_delay_alu instid0(SALU_CYCLE_1)
	s_cmp_eq_u64 s[8:9], 0
	s_wait_loadcnt_dscnt 0x0
	v_fmac_f64_e32 v[4:5], v[10:11], v[12:13]
	s_cbranch_scc0 .LBB53_3
	s_branch .LBB53_5
.LBB53_4:
	v_mov_b64_e32 v[4:5], 0
.LBB53_5:
	s_clause 0x1
	s_load_b256 s[12:19], s[0:1], 0x80
	s_load_b128 s[4:7], s[0:1], 0xa0
	s_wait_kmcnt 0x0
	v_mul_u64_e32 v[2:3], s[18:19], v[2:3]
	v_mul_u64_e32 v[0:1], s[4:5], v[0:1]
	s_mul_u64 s[0:1], s[6:7], s[2:3]
	s_lshl_b64 s[2:3], s[16:17], 3
	s_lshl_b64 s[0:1], s[0:1], 3
	s_delay_alu instid0(SALU_CYCLE_1) | instskip(NEXT) | instid1(SALU_CYCLE_1)
	s_add_nc_u64 s[0:1], s[14:15], s[0:1]
	s_add_nc_u64 s[0:1], s[0:1], s[2:3]
	s_delay_alu instid0(VALU_DEP_2) | instid1(SALU_CYCLE_1)
	v_lshl_add_u64 v[2:3], v[2:3], 3, s[0:1]
	s_delay_alu instid0(VALU_DEP_1) | instskip(SKIP_3) | instid1(VALU_DEP_1)
	v_lshl_add_u64 v[0:1], v[0:1], 3, v[2:3]
	global_load_b64 v[2:3], v[0:1], off
	s_wait_loadcnt 0x0
	v_mul_f64_e32 v[2:3], s[12:13], v[2:3]
	v_fmac_f64_e32 v[2:3], s[10:11], v[4:5]
	global_store_b64 v[0:1], v[2:3], off
.LBB53_6:
	s_endpgm
	.section	.rodata,"a",@progbits
	.p2align	6, 0x0
	.amdhsa_kernel _ZN9rocsolver6v33100L11gemm_kernelIdldPKPdS4_S2_EEvT0_S5_S5_T1_bT2_lS5_S5_lbT3_lS5_S5_lS6_T4_lS5_S5_l
		.amdhsa_group_segment_fixed_size 0
		.amdhsa_private_segment_fixed_size 0
		.amdhsa_kernarg_size 432
		.amdhsa_user_sgpr_count 2
		.amdhsa_user_sgpr_dispatch_ptr 0
		.amdhsa_user_sgpr_queue_ptr 0
		.amdhsa_user_sgpr_kernarg_segment_ptr 1
		.amdhsa_user_sgpr_dispatch_id 0
		.amdhsa_user_sgpr_kernarg_preload_length 0
		.amdhsa_user_sgpr_kernarg_preload_offset 0
		.amdhsa_user_sgpr_private_segment_size 0
		.amdhsa_wavefront_size32 1
		.amdhsa_uses_dynamic_stack 0
		.amdhsa_enable_private_segment 0
		.amdhsa_system_sgpr_workgroup_id_x 1
		.amdhsa_system_sgpr_workgroup_id_y 1
		.amdhsa_system_sgpr_workgroup_id_z 1
		.amdhsa_system_sgpr_workgroup_info 0
		.amdhsa_system_vgpr_workitem_id 1
		.amdhsa_next_free_vgpr 14
		.amdhsa_next_free_sgpr 28
		.amdhsa_named_barrier_count 0
		.amdhsa_reserve_vcc 1
		.amdhsa_float_round_mode_32 0
		.amdhsa_float_round_mode_16_64 0
		.amdhsa_float_denorm_mode_32 3
		.amdhsa_float_denorm_mode_16_64 3
		.amdhsa_fp16_overflow 0
		.amdhsa_memory_ordered 1
		.amdhsa_forward_progress 1
		.amdhsa_inst_pref_size 5
		.amdhsa_round_robin_scheduling 0
		.amdhsa_exception_fp_ieee_invalid_op 0
		.amdhsa_exception_fp_denorm_src 0
		.amdhsa_exception_fp_ieee_div_zero 0
		.amdhsa_exception_fp_ieee_overflow 0
		.amdhsa_exception_fp_ieee_underflow 0
		.amdhsa_exception_fp_ieee_inexact 0
		.amdhsa_exception_int_div_zero 0
	.end_amdhsa_kernel
	.section	.text._ZN9rocsolver6v33100L11gemm_kernelIdldPKPdS4_S2_EEvT0_S5_S5_T1_bT2_lS5_S5_lbT3_lS5_S5_lS6_T4_lS5_S5_l,"axG",@progbits,_ZN9rocsolver6v33100L11gemm_kernelIdldPKPdS4_S2_EEvT0_S5_S5_T1_bT2_lS5_S5_lbT3_lS5_S5_lS6_T4_lS5_S5_l,comdat
.Lfunc_end53:
	.size	_ZN9rocsolver6v33100L11gemm_kernelIdldPKPdS4_S2_EEvT0_S5_S5_T1_bT2_lS5_S5_lbT3_lS5_S5_lS6_T4_lS5_S5_l, .Lfunc_end53-_ZN9rocsolver6v33100L11gemm_kernelIdldPKPdS4_S2_EEvT0_S5_S5_T1_bT2_lS5_S5_lbT3_lS5_S5_lS6_T4_lS5_S5_l
                                        ; -- End function
	.set _ZN9rocsolver6v33100L11gemm_kernelIdldPKPdS4_S2_EEvT0_S5_S5_T1_bT2_lS5_S5_lbT3_lS5_S5_lS6_T4_lS5_S5_l.num_vgpr, 14
	.set _ZN9rocsolver6v33100L11gemm_kernelIdldPKPdS4_S2_EEvT0_S5_S5_T1_bT2_lS5_S5_lbT3_lS5_S5_lS6_T4_lS5_S5_l.num_agpr, 0
	.set _ZN9rocsolver6v33100L11gemm_kernelIdldPKPdS4_S2_EEvT0_S5_S5_T1_bT2_lS5_S5_lbT3_lS5_S5_lS6_T4_lS5_S5_l.numbered_sgpr, 28
	.set _ZN9rocsolver6v33100L11gemm_kernelIdldPKPdS4_S2_EEvT0_S5_S5_T1_bT2_lS5_S5_lbT3_lS5_S5_lS6_T4_lS5_S5_l.num_named_barrier, 0
	.set _ZN9rocsolver6v33100L11gemm_kernelIdldPKPdS4_S2_EEvT0_S5_S5_T1_bT2_lS5_S5_lbT3_lS5_S5_lS6_T4_lS5_S5_l.private_seg_size, 0
	.set _ZN9rocsolver6v33100L11gemm_kernelIdldPKPdS4_S2_EEvT0_S5_S5_T1_bT2_lS5_S5_lbT3_lS5_S5_lS6_T4_lS5_S5_l.uses_vcc, 1
	.set _ZN9rocsolver6v33100L11gemm_kernelIdldPKPdS4_S2_EEvT0_S5_S5_T1_bT2_lS5_S5_lbT3_lS5_S5_lS6_T4_lS5_S5_l.uses_flat_scratch, 0
	.set _ZN9rocsolver6v33100L11gemm_kernelIdldPKPdS4_S2_EEvT0_S5_S5_T1_bT2_lS5_S5_lbT3_lS5_S5_lS6_T4_lS5_S5_l.has_dyn_sized_stack, 0
	.set _ZN9rocsolver6v33100L11gemm_kernelIdldPKPdS4_S2_EEvT0_S5_S5_T1_bT2_lS5_S5_lbT3_lS5_S5_lS6_T4_lS5_S5_l.has_recursion, 0
	.set _ZN9rocsolver6v33100L11gemm_kernelIdldPKPdS4_S2_EEvT0_S5_S5_T1_bT2_lS5_S5_lbT3_lS5_S5_lS6_T4_lS5_S5_l.has_indirect_call, 0
	.section	.AMDGPU.csdata,"",@progbits
; Kernel info:
; codeLenInByte = 536
; TotalNumSgprs: 30
; NumVgprs: 14
; ScratchSize: 0
; MemoryBound: 0
; FloatMode: 240
; IeeeMode: 1
; LDSByteSize: 0 bytes/workgroup (compile time only)
; SGPRBlocks: 0
; VGPRBlocks: 0
; NumSGPRsForWavesPerEU: 30
; NumVGPRsForWavesPerEU: 14
; NamedBarCnt: 0
; Occupancy: 16
; WaveLimiterHint : 0
; COMPUTE_PGM_RSRC2:SCRATCH_EN: 0
; COMPUTE_PGM_RSRC2:USER_SGPR: 2
; COMPUTE_PGM_RSRC2:TRAP_HANDLER: 0
; COMPUTE_PGM_RSRC2:TGID_X_EN: 1
; COMPUTE_PGM_RSRC2:TGID_Y_EN: 1
; COMPUTE_PGM_RSRC2:TGID_Z_EN: 1
; COMPUTE_PGM_RSRC2:TIDIG_COMP_CNT: 1
	.section	.text._ZN9rocsolver6v33100L16mfma_gemm_kernelIdlPKdPKPdS4_S4_EEv18rocblas_operation_S7_T0_S8_S8_T1_T2_lS8_S8_lT3_lS8_S8_lS9_T4_lS8_S8_l,"axG",@progbits,_ZN9rocsolver6v33100L16mfma_gemm_kernelIdlPKdPKPdS4_S4_EEv18rocblas_operation_S7_T0_S8_S8_T1_T2_lS8_S8_lT3_lS8_S8_lS9_T4_lS8_S8_l,comdat
	.globl	_ZN9rocsolver6v33100L16mfma_gemm_kernelIdlPKdPKPdS4_S4_EEv18rocblas_operation_S7_T0_S8_S8_T1_T2_lS8_S8_lT3_lS8_S8_lS9_T4_lS8_S8_l ; -- Begin function _ZN9rocsolver6v33100L16mfma_gemm_kernelIdlPKdPKPdS4_S4_EEv18rocblas_operation_S7_T0_S8_S8_T1_T2_lS8_S8_lT3_lS8_S8_lS9_T4_lS8_S8_l
	.p2align	8
	.type	_ZN9rocsolver6v33100L16mfma_gemm_kernelIdlPKdPKPdS4_S4_EEv18rocblas_operation_S7_T0_S8_S8_T1_T2_lS8_S8_lT3_lS8_S8_lS9_T4_lS8_S8_l,@function
_ZN9rocsolver6v33100L16mfma_gemm_kernelIdlPKdPKPdS4_S4_EEv18rocblas_operation_S7_T0_S8_S8_T1_T2_lS8_S8_lT3_lS8_S8_lS9_T4_lS8_S8_l: ; @_ZN9rocsolver6v33100L16mfma_gemm_kernelIdlPKdPKPdS4_S4_EEv18rocblas_operation_S7_T0_S8_S8_T1_T2_lS8_S8_lT3_lS8_S8_lS9_T4_lS8_S8_l
; %bb.0:
	s_endpgm
	.section	.rodata,"a",@progbits
	.p2align	6, 0x0
	.amdhsa_kernel _ZN9rocsolver6v33100L16mfma_gemm_kernelIdlPKdPKPdS4_S4_EEv18rocblas_operation_S7_T0_S8_S8_T1_T2_lS8_S8_lT3_lS8_S8_lS9_T4_lS8_S8_l
		.amdhsa_group_segment_fixed_size 0
		.amdhsa_private_segment_fixed_size 0
		.amdhsa_kernarg_size 168
		.amdhsa_user_sgpr_count 2
		.amdhsa_user_sgpr_dispatch_ptr 0
		.amdhsa_user_sgpr_queue_ptr 0
		.amdhsa_user_sgpr_kernarg_segment_ptr 1
		.amdhsa_user_sgpr_dispatch_id 0
		.amdhsa_user_sgpr_kernarg_preload_length 0
		.amdhsa_user_sgpr_kernarg_preload_offset 0
		.amdhsa_user_sgpr_private_segment_size 0
		.amdhsa_wavefront_size32 1
		.amdhsa_uses_dynamic_stack 0
		.amdhsa_enable_private_segment 0
		.amdhsa_system_sgpr_workgroup_id_x 1
		.amdhsa_system_sgpr_workgroup_id_y 0
		.amdhsa_system_sgpr_workgroup_id_z 0
		.amdhsa_system_sgpr_workgroup_info 0
		.amdhsa_system_vgpr_workitem_id 0
		.amdhsa_next_free_vgpr 1
		.amdhsa_next_free_sgpr 1
		.amdhsa_named_barrier_count 0
		.amdhsa_reserve_vcc 0
		.amdhsa_float_round_mode_32 0
		.amdhsa_float_round_mode_16_64 0
		.amdhsa_float_denorm_mode_32 3
		.amdhsa_float_denorm_mode_16_64 3
		.amdhsa_fp16_overflow 0
		.amdhsa_memory_ordered 1
		.amdhsa_forward_progress 1
		.amdhsa_inst_pref_size 1
		.amdhsa_round_robin_scheduling 0
		.amdhsa_exception_fp_ieee_invalid_op 0
		.amdhsa_exception_fp_denorm_src 0
		.amdhsa_exception_fp_ieee_div_zero 0
		.amdhsa_exception_fp_ieee_overflow 0
		.amdhsa_exception_fp_ieee_underflow 0
		.amdhsa_exception_fp_ieee_inexact 0
		.amdhsa_exception_int_div_zero 0
	.end_amdhsa_kernel
	.section	.text._ZN9rocsolver6v33100L16mfma_gemm_kernelIdlPKdPKPdS4_S4_EEv18rocblas_operation_S7_T0_S8_S8_T1_T2_lS8_S8_lT3_lS8_S8_lS9_T4_lS8_S8_l,"axG",@progbits,_ZN9rocsolver6v33100L16mfma_gemm_kernelIdlPKdPKPdS4_S4_EEv18rocblas_operation_S7_T0_S8_S8_T1_T2_lS8_S8_lT3_lS8_S8_lS9_T4_lS8_S8_l,comdat
.Lfunc_end54:
	.size	_ZN9rocsolver6v33100L16mfma_gemm_kernelIdlPKdPKPdS4_S4_EEv18rocblas_operation_S7_T0_S8_S8_T1_T2_lS8_S8_lT3_lS8_S8_lS9_T4_lS8_S8_l, .Lfunc_end54-_ZN9rocsolver6v33100L16mfma_gemm_kernelIdlPKdPKPdS4_S4_EEv18rocblas_operation_S7_T0_S8_S8_T1_T2_lS8_S8_lT3_lS8_S8_lS9_T4_lS8_S8_l
                                        ; -- End function
	.set _ZN9rocsolver6v33100L16mfma_gemm_kernelIdlPKdPKPdS4_S4_EEv18rocblas_operation_S7_T0_S8_S8_T1_T2_lS8_S8_lT3_lS8_S8_lS9_T4_lS8_S8_l.num_vgpr, 0
	.set _ZN9rocsolver6v33100L16mfma_gemm_kernelIdlPKdPKPdS4_S4_EEv18rocblas_operation_S7_T0_S8_S8_T1_T2_lS8_S8_lT3_lS8_S8_lS9_T4_lS8_S8_l.num_agpr, 0
	.set _ZN9rocsolver6v33100L16mfma_gemm_kernelIdlPKdPKPdS4_S4_EEv18rocblas_operation_S7_T0_S8_S8_T1_T2_lS8_S8_lT3_lS8_S8_lS9_T4_lS8_S8_l.numbered_sgpr, 0
	.set _ZN9rocsolver6v33100L16mfma_gemm_kernelIdlPKdPKPdS4_S4_EEv18rocblas_operation_S7_T0_S8_S8_T1_T2_lS8_S8_lT3_lS8_S8_lS9_T4_lS8_S8_l.num_named_barrier, 0
	.set _ZN9rocsolver6v33100L16mfma_gemm_kernelIdlPKdPKPdS4_S4_EEv18rocblas_operation_S7_T0_S8_S8_T1_T2_lS8_S8_lT3_lS8_S8_lS9_T4_lS8_S8_l.private_seg_size, 0
	.set _ZN9rocsolver6v33100L16mfma_gemm_kernelIdlPKdPKPdS4_S4_EEv18rocblas_operation_S7_T0_S8_S8_T1_T2_lS8_S8_lT3_lS8_S8_lS9_T4_lS8_S8_l.uses_vcc, 0
	.set _ZN9rocsolver6v33100L16mfma_gemm_kernelIdlPKdPKPdS4_S4_EEv18rocblas_operation_S7_T0_S8_S8_T1_T2_lS8_S8_lT3_lS8_S8_lS9_T4_lS8_S8_l.uses_flat_scratch, 0
	.set _ZN9rocsolver6v33100L16mfma_gemm_kernelIdlPKdPKPdS4_S4_EEv18rocblas_operation_S7_T0_S8_S8_T1_T2_lS8_S8_lT3_lS8_S8_lS9_T4_lS8_S8_l.has_dyn_sized_stack, 0
	.set _ZN9rocsolver6v33100L16mfma_gemm_kernelIdlPKdPKPdS4_S4_EEv18rocblas_operation_S7_T0_S8_S8_T1_T2_lS8_S8_lT3_lS8_S8_lS9_T4_lS8_S8_l.has_recursion, 0
	.set _ZN9rocsolver6v33100L16mfma_gemm_kernelIdlPKdPKPdS4_S4_EEv18rocblas_operation_S7_T0_S8_S8_T1_T2_lS8_S8_lT3_lS8_S8_lS9_T4_lS8_S8_l.has_indirect_call, 0
	.section	.AMDGPU.csdata,"",@progbits
; Kernel info:
; codeLenInByte = 4
; TotalNumSgprs: 0
; NumVgprs: 0
; ScratchSize: 0
; MemoryBound: 0
; FloatMode: 240
; IeeeMode: 1
; LDSByteSize: 0 bytes/workgroup (compile time only)
; SGPRBlocks: 0
; VGPRBlocks: 0
; NumSGPRsForWavesPerEU: 1
; NumVGPRsForWavesPerEU: 1
; NamedBarCnt: 0
; Occupancy: 16
; WaveLimiterHint : 0
; COMPUTE_PGM_RSRC2:SCRATCH_EN: 0
; COMPUTE_PGM_RSRC2:USER_SGPR: 2
; COMPUTE_PGM_RSRC2:TRAP_HANDLER: 0
; COMPUTE_PGM_RSRC2:TGID_X_EN: 1
; COMPUTE_PGM_RSRC2:TGID_Y_EN: 0
; COMPUTE_PGM_RSRC2:TGID_Z_EN: 0
; COMPUTE_PGM_RSRC2:TIDIG_COMP_CNT: 0
	.section	.text._ZN9rocsolver6v33100L16mfma_gemm_kernelIdldPKPdS2_S2_EEv18rocblas_operation_S5_T0_S6_S6_T1_T2_lS6_S6_lT3_lS6_S6_lS7_T4_lS6_S6_l,"axG",@progbits,_ZN9rocsolver6v33100L16mfma_gemm_kernelIdldPKPdS2_S2_EEv18rocblas_operation_S5_T0_S6_S6_T1_T2_lS6_S6_lT3_lS6_S6_lS7_T4_lS6_S6_l,comdat
	.globl	_ZN9rocsolver6v33100L16mfma_gemm_kernelIdldPKPdS2_S2_EEv18rocblas_operation_S5_T0_S6_S6_T1_T2_lS6_S6_lT3_lS6_S6_lS7_T4_lS6_S6_l ; -- Begin function _ZN9rocsolver6v33100L16mfma_gemm_kernelIdldPKPdS2_S2_EEv18rocblas_operation_S5_T0_S6_S6_T1_T2_lS6_S6_lT3_lS6_S6_lS7_T4_lS6_S6_l
	.p2align	8
	.type	_ZN9rocsolver6v33100L16mfma_gemm_kernelIdldPKPdS2_S2_EEv18rocblas_operation_S5_T0_S6_S6_T1_T2_lS6_S6_lT3_lS6_S6_lS7_T4_lS6_S6_l,@function
_ZN9rocsolver6v33100L16mfma_gemm_kernelIdldPKPdS2_S2_EEv18rocblas_operation_S5_T0_S6_S6_T1_T2_lS6_S6_lT3_lS6_S6_lS7_T4_lS6_S6_l: ; @_ZN9rocsolver6v33100L16mfma_gemm_kernelIdldPKPdS2_S2_EEv18rocblas_operation_S5_T0_S6_S6_T1_T2_lS6_S6_lT3_lS6_S6_lS7_T4_lS6_S6_l
; %bb.0:
	s_endpgm
	.section	.rodata,"a",@progbits
	.p2align	6, 0x0
	.amdhsa_kernel _ZN9rocsolver6v33100L16mfma_gemm_kernelIdldPKPdS2_S2_EEv18rocblas_operation_S5_T0_S6_S6_T1_T2_lS6_S6_lT3_lS6_S6_lS7_T4_lS6_S6_l
		.amdhsa_group_segment_fixed_size 0
		.amdhsa_private_segment_fixed_size 0
		.amdhsa_kernarg_size 168
		.amdhsa_user_sgpr_count 2
		.amdhsa_user_sgpr_dispatch_ptr 0
		.amdhsa_user_sgpr_queue_ptr 0
		.amdhsa_user_sgpr_kernarg_segment_ptr 1
		.amdhsa_user_sgpr_dispatch_id 0
		.amdhsa_user_sgpr_kernarg_preload_length 0
		.amdhsa_user_sgpr_kernarg_preload_offset 0
		.amdhsa_user_sgpr_private_segment_size 0
		.amdhsa_wavefront_size32 1
		.amdhsa_uses_dynamic_stack 0
		.amdhsa_enable_private_segment 0
		.amdhsa_system_sgpr_workgroup_id_x 1
		.amdhsa_system_sgpr_workgroup_id_y 0
		.amdhsa_system_sgpr_workgroup_id_z 0
		.amdhsa_system_sgpr_workgroup_info 0
		.amdhsa_system_vgpr_workitem_id 0
		.amdhsa_next_free_vgpr 1
		.amdhsa_next_free_sgpr 1
		.amdhsa_named_barrier_count 0
		.amdhsa_reserve_vcc 0
		.amdhsa_float_round_mode_32 0
		.amdhsa_float_round_mode_16_64 0
		.amdhsa_float_denorm_mode_32 3
		.amdhsa_float_denorm_mode_16_64 3
		.amdhsa_fp16_overflow 0
		.amdhsa_memory_ordered 1
		.amdhsa_forward_progress 1
		.amdhsa_inst_pref_size 1
		.amdhsa_round_robin_scheduling 0
		.amdhsa_exception_fp_ieee_invalid_op 0
		.amdhsa_exception_fp_denorm_src 0
		.amdhsa_exception_fp_ieee_div_zero 0
		.amdhsa_exception_fp_ieee_overflow 0
		.amdhsa_exception_fp_ieee_underflow 0
		.amdhsa_exception_fp_ieee_inexact 0
		.amdhsa_exception_int_div_zero 0
	.end_amdhsa_kernel
	.section	.text._ZN9rocsolver6v33100L16mfma_gemm_kernelIdldPKPdS2_S2_EEv18rocblas_operation_S5_T0_S6_S6_T1_T2_lS6_S6_lT3_lS6_S6_lS7_T4_lS6_S6_l,"axG",@progbits,_ZN9rocsolver6v33100L16mfma_gemm_kernelIdldPKPdS2_S2_EEv18rocblas_operation_S5_T0_S6_S6_T1_T2_lS6_S6_lT3_lS6_S6_lS7_T4_lS6_S6_l,comdat
.Lfunc_end55:
	.size	_ZN9rocsolver6v33100L16mfma_gemm_kernelIdldPKPdS2_S2_EEv18rocblas_operation_S5_T0_S6_S6_T1_T2_lS6_S6_lT3_lS6_S6_lS7_T4_lS6_S6_l, .Lfunc_end55-_ZN9rocsolver6v33100L16mfma_gemm_kernelIdldPKPdS2_S2_EEv18rocblas_operation_S5_T0_S6_S6_T1_T2_lS6_S6_lT3_lS6_S6_lS7_T4_lS6_S6_l
                                        ; -- End function
	.set _ZN9rocsolver6v33100L16mfma_gemm_kernelIdldPKPdS2_S2_EEv18rocblas_operation_S5_T0_S6_S6_T1_T2_lS6_S6_lT3_lS6_S6_lS7_T4_lS6_S6_l.num_vgpr, 0
	.set _ZN9rocsolver6v33100L16mfma_gemm_kernelIdldPKPdS2_S2_EEv18rocblas_operation_S5_T0_S6_S6_T1_T2_lS6_S6_lT3_lS6_S6_lS7_T4_lS6_S6_l.num_agpr, 0
	.set _ZN9rocsolver6v33100L16mfma_gemm_kernelIdldPKPdS2_S2_EEv18rocblas_operation_S5_T0_S6_S6_T1_T2_lS6_S6_lT3_lS6_S6_lS7_T4_lS6_S6_l.numbered_sgpr, 0
	.set _ZN9rocsolver6v33100L16mfma_gemm_kernelIdldPKPdS2_S2_EEv18rocblas_operation_S5_T0_S6_S6_T1_T2_lS6_S6_lT3_lS6_S6_lS7_T4_lS6_S6_l.num_named_barrier, 0
	.set _ZN9rocsolver6v33100L16mfma_gemm_kernelIdldPKPdS2_S2_EEv18rocblas_operation_S5_T0_S6_S6_T1_T2_lS6_S6_lT3_lS6_S6_lS7_T4_lS6_S6_l.private_seg_size, 0
	.set _ZN9rocsolver6v33100L16mfma_gemm_kernelIdldPKPdS2_S2_EEv18rocblas_operation_S5_T0_S6_S6_T1_T2_lS6_S6_lT3_lS6_S6_lS7_T4_lS6_S6_l.uses_vcc, 0
	.set _ZN9rocsolver6v33100L16mfma_gemm_kernelIdldPKPdS2_S2_EEv18rocblas_operation_S5_T0_S6_S6_T1_T2_lS6_S6_lT3_lS6_S6_lS7_T4_lS6_S6_l.uses_flat_scratch, 0
	.set _ZN9rocsolver6v33100L16mfma_gemm_kernelIdldPKPdS2_S2_EEv18rocblas_operation_S5_T0_S6_S6_T1_T2_lS6_S6_lT3_lS6_S6_lS7_T4_lS6_S6_l.has_dyn_sized_stack, 0
	.set _ZN9rocsolver6v33100L16mfma_gemm_kernelIdldPKPdS2_S2_EEv18rocblas_operation_S5_T0_S6_S6_T1_T2_lS6_S6_lT3_lS6_S6_lS7_T4_lS6_S6_l.has_recursion, 0
	.set _ZN9rocsolver6v33100L16mfma_gemm_kernelIdldPKPdS2_S2_EEv18rocblas_operation_S5_T0_S6_S6_T1_T2_lS6_S6_lT3_lS6_S6_lS7_T4_lS6_S6_l.has_indirect_call, 0
	.section	.AMDGPU.csdata,"",@progbits
; Kernel info:
; codeLenInByte = 4
; TotalNumSgprs: 0
; NumVgprs: 0
; ScratchSize: 0
; MemoryBound: 0
; FloatMode: 240
; IeeeMode: 1
; LDSByteSize: 0 bytes/workgroup (compile time only)
; SGPRBlocks: 0
; VGPRBlocks: 0
; NumSGPRsForWavesPerEU: 1
; NumVGPRsForWavesPerEU: 1
; NamedBarCnt: 0
; Occupancy: 16
; WaveLimiterHint : 0
; COMPUTE_PGM_RSRC2:SCRATCH_EN: 0
; COMPUTE_PGM_RSRC2:USER_SGPR: 2
; COMPUTE_PGM_RSRC2:TRAP_HANDLER: 0
; COMPUTE_PGM_RSRC2:TGID_X_EN: 1
; COMPUTE_PGM_RSRC2:TGID_Y_EN: 0
; COMPUTE_PGM_RSRC2:TGID_Z_EN: 0
; COMPUTE_PGM_RSRC2:TIDIG_COMP_CNT: 0
	.section	.text._ZN9rocsolver6v33100L11gemm_kernelIdlPKdPKPdS4_S4_EEvT0_S7_S7_T1_bT2_lS7_S7_lbT3_lS7_S7_lS8_T4_lS7_S7_l,"axG",@progbits,_ZN9rocsolver6v33100L11gemm_kernelIdlPKdPKPdS4_S4_EEvT0_S7_S7_T1_bT2_lS7_S7_lbT3_lS7_S7_lS8_T4_lS7_S7_l,comdat
	.globl	_ZN9rocsolver6v33100L11gemm_kernelIdlPKdPKPdS4_S4_EEvT0_S7_S7_T1_bT2_lS7_S7_lbT3_lS7_S7_lS8_T4_lS7_S7_l ; -- Begin function _ZN9rocsolver6v33100L11gemm_kernelIdlPKdPKPdS4_S4_EEvT0_S7_S7_T1_bT2_lS7_S7_lbT3_lS7_S7_lS8_T4_lS7_S7_l
	.p2align	8
	.type	_ZN9rocsolver6v33100L11gemm_kernelIdlPKdPKPdS4_S4_EEvT0_S7_S7_T1_bT2_lS7_S7_lbT3_lS7_S7_lS8_T4_lS7_S7_l,@function
_ZN9rocsolver6v33100L11gemm_kernelIdlPKdPKPdS4_S4_EEvT0_S7_S7_T1_bT2_lS7_S7_lbT3_lS7_S7_lS8_T4_lS7_S7_l: ; @_ZN9rocsolver6v33100L11gemm_kernelIdlPKdPKPdS4_S4_EEvT0_S7_S7_T1_bT2_lS7_S7_lbT3_lS7_S7_lS8_T4_lS7_S7_l
; %bb.0:
	s_load_b32 s2, s[0:1], 0xbc
	s_bfe_u32 s4, ttmp6, 0x40010
	s_bfe_u32 s7, ttmp6, 0x4000c
	s_and_b32 s3, ttmp7, 0xffff
	s_add_co_i32 s4, s4, 1
	s_add_co_i32 s7, s7, 1
	s_bfe_u32 s5, ttmp6, 0x40004
	s_and_b32 s6, ttmp6, 15
	s_mul_i32 s4, s3, s4
	s_mul_i32 s7, ttmp9, s7
	s_getreg_b32 s24, hwreg(HW_REG_IB_STS2, 6, 4)
	v_mov_b32_e32 v5, 0
	v_and_b32_e32 v4, 0x3ff, v0
	s_add_co_i32 s5, s5, s4
	s_add_co_i32 s6, s6, s7
	s_load_b256 s[16:23], s[0:1], 0x0
	s_wait_kmcnt 0x0
	s_lshr_b32 s4, s2, 16
	s_and_b32 s2, s2, 0xffff
	s_cmp_eq_u32 s24, 0
	s_cselect_b32 s6, ttmp9, s6
	s_delay_alu instid0(SALU_CYCLE_1) | instskip(SKIP_3) | instid1(VALU_DEP_1)
	v_mad_nc_u64_u32 v[2:3], s2, s6, v[4:5]
	v_bfe_u32 v4, v0, 10, 10
	s_cselect_b32 s2, s3, s5
	s_mov_b32 s3, 0
	v_mad_nc_u64_u32 v[0:1], s4, s2, v[4:5]
	s_delay_alu instid0(VALU_DEP_3) | instskip(NEXT) | instid1(VALU_DEP_2)
	v_cmp_gt_i64_e32 vcc_lo, s[16:17], v[2:3]
	v_cmp_gt_i64_e64 s2, s[18:19], v[0:1]
	s_and_b32 s2, vcc_lo, s2
	s_delay_alu instid0(SALU_CYCLE_1)
	s_and_saveexec_b32 s4, s2
	s_cbranch_execz .LBB56_6
; %bb.1:
	s_load_b512 s[4:19], s[0:1], 0x58
	s_bfe_u32 s2, ttmp6, 0x40014
	s_lshr_b32 s25, ttmp7, 16
	s_add_co_i32 s2, s2, 1
	v_cmp_lt_i64_e64 s26, s[20:21], 1
	s_mul_i32 s2, s25, s2
	s_bfe_u32 s27, ttmp6, 0x40008
	s_delay_alu instid0(SALU_CYCLE_1)
	s_add_co_i32 s27, s27, s2
	s_cmp_eq_u32 s24, 0
	s_cselect_b32 s2, s25, s27
	s_and_b32 vcc_lo, exec_lo, s26
	s_cbranch_vccnz .LBB56_4
; %bb.2:
	s_load_b256 s[24:31], s[0:1], 0x28
	s_wait_kmcnt 0x0
	v_mul_u64_e32 v[8:9], s[10:11], v[0:1]
	s_mul_u64 s[12:13], s[12:13], s[2:3]
	s_lshl_b64 s[6:7], s[6:7], 3
	s_lshl_b64 s[12:13], s[12:13], 3
	v_mov_b64_e32 v[4:5], 0
	s_add_nc_u64 s[4:5], s[4:5], s[12:13]
	s_delay_alu instid0(SALU_CYCLE_1)
	s_add_nc_u64 s[4:5], s[4:5], s[6:7]
	v_mul_u64_e32 v[6:7], s[28:29], v[2:3]
	s_load_b64 s[10:11], s[24:25], s2 offset:0x0 scale_offset
	s_wait_xcnt 0x0
	s_lshl_b64 s[24:25], s[26:27], 3
	s_lshl_b64 s[6:7], s[30:31], 3
	s_delay_alu instid0(VALU_DEP_3)
	v_lshl_add_u64 v[8:9], v[8:9], 3, s[4:5]
	s_lshl_b64 s[4:5], s[8:9], 3
	s_wait_kmcnt 0x0
	s_add_nc_u64 s[10:11], s[10:11], s[24:25]
	s_delay_alu instid0(VALU_DEP_2) | instid1(SALU_CYCLE_1)
	v_lshl_add_u64 v[6:7], v[6:7], 3, s[10:11]
.LBB56_3:                               ; =>This Inner Loop Header: Depth=1
	flat_load_b64 v[10:11], v[6:7]
	global_load_b64 v[12:13], v[8:9], off
	s_wait_xcnt 0x0
	v_add_nc_u64_e32 v[8:9], s[4:5], v[8:9]
	v_add_nc_u64_e32 v[6:7], s[6:7], v[6:7]
	s_add_nc_u64 s[20:21], s[20:21], -1
	s_delay_alu instid0(SALU_CYCLE_1)
	s_cmp_eq_u64 s[20:21], 0
	s_wait_loadcnt_dscnt 0x0
	v_fmac_f64_e32 v[4:5], v[10:11], v[12:13]
	s_cbranch_scc0 .LBB56_3
	s_branch .LBB56_5
.LBB56_4:
	v_mov_b64_e32 v[4:5], 0
.LBB56_5:
	s_wait_kmcnt 0x0
	s_load_b64 s[4:5], s[22:23], 0x0
	s_load_b64 s[6:7], s[14:15], 0x0
                                        ; kill: killed $sgpr22_sgpr23
                                        ; kill: killed $sgpr14_sgpr15
	s_clause 0x1
	s_load_b128 s[8:11], s[0:1], 0x98
	s_load_b64 s[12:13], s[0:1], 0xa8
	s_wait_kmcnt 0x0
	v_mul_u64_e32 v[2:3], s[8:9], v[2:3]
	v_mul_u64_e32 v[0:1], s[10:11], v[0:1]
	s_mul_u64 s[0:1], s[12:13], s[2:3]
	s_lshl_b64 s[2:3], s[18:19], 3
	s_lshl_b64 s[0:1], s[0:1], 3
	s_delay_alu instid0(SALU_CYCLE_1) | instskip(NEXT) | instid1(SALU_CYCLE_1)
	s_add_nc_u64 s[0:1], s[16:17], s[0:1]
	s_add_nc_u64 s[0:1], s[0:1], s[2:3]
	s_delay_alu instid0(VALU_DEP_2) | instid1(SALU_CYCLE_1)
	v_lshl_add_u64 v[2:3], v[2:3], 3, s[0:1]
	s_delay_alu instid0(VALU_DEP_1) | instskip(SKIP_3) | instid1(VALU_DEP_1)
	v_lshl_add_u64 v[0:1], v[0:1], 3, v[2:3]
	global_load_b64 v[2:3], v[0:1], off
	s_wait_loadcnt 0x0
	v_mul_f64_e32 v[2:3], s[6:7], v[2:3]
	v_fmac_f64_e32 v[2:3], s[4:5], v[4:5]
	global_store_b64 v[0:1], v[2:3], off
.LBB56_6:
	s_endpgm
	.section	.rodata,"a",@progbits
	.p2align	6, 0x0
	.amdhsa_kernel _ZN9rocsolver6v33100L11gemm_kernelIdlPKdPKPdS4_S4_EEvT0_S7_S7_T1_bT2_lS7_S7_lbT3_lS7_S7_lS8_T4_lS7_S7_l
		.amdhsa_group_segment_fixed_size 0
		.amdhsa_private_segment_fixed_size 0
		.amdhsa_kernarg_size 432
		.amdhsa_user_sgpr_count 2
		.amdhsa_user_sgpr_dispatch_ptr 0
		.amdhsa_user_sgpr_queue_ptr 0
		.amdhsa_user_sgpr_kernarg_segment_ptr 1
		.amdhsa_user_sgpr_dispatch_id 0
		.amdhsa_user_sgpr_kernarg_preload_length 0
		.amdhsa_user_sgpr_kernarg_preload_offset 0
		.amdhsa_user_sgpr_private_segment_size 0
		.amdhsa_wavefront_size32 1
		.amdhsa_uses_dynamic_stack 0
		.amdhsa_enable_private_segment 0
		.amdhsa_system_sgpr_workgroup_id_x 1
		.amdhsa_system_sgpr_workgroup_id_y 1
		.amdhsa_system_sgpr_workgroup_id_z 1
		.amdhsa_system_sgpr_workgroup_info 0
		.amdhsa_system_vgpr_workitem_id 1
		.amdhsa_next_free_vgpr 14
		.amdhsa_next_free_sgpr 32
		.amdhsa_named_barrier_count 0
		.amdhsa_reserve_vcc 1
		.amdhsa_float_round_mode_32 0
		.amdhsa_float_round_mode_16_64 0
		.amdhsa_float_denorm_mode_32 3
		.amdhsa_float_denorm_mode_16_64 3
		.amdhsa_fp16_overflow 0
		.amdhsa_memory_ordered 1
		.amdhsa_forward_progress 1
		.amdhsa_inst_pref_size 5
		.amdhsa_round_robin_scheduling 0
		.amdhsa_exception_fp_ieee_invalid_op 0
		.amdhsa_exception_fp_denorm_src 0
		.amdhsa_exception_fp_ieee_div_zero 0
		.amdhsa_exception_fp_ieee_overflow 0
		.amdhsa_exception_fp_ieee_underflow 0
		.amdhsa_exception_fp_ieee_inexact 0
		.amdhsa_exception_int_div_zero 0
	.end_amdhsa_kernel
	.section	.text._ZN9rocsolver6v33100L11gemm_kernelIdlPKdPKPdS4_S4_EEvT0_S7_S7_T1_bT2_lS7_S7_lbT3_lS7_S7_lS8_T4_lS7_S7_l,"axG",@progbits,_ZN9rocsolver6v33100L11gemm_kernelIdlPKdPKPdS4_S4_EEvT0_S7_S7_T1_bT2_lS7_S7_lbT3_lS7_S7_lS8_T4_lS7_S7_l,comdat
.Lfunc_end56:
	.size	_ZN9rocsolver6v33100L11gemm_kernelIdlPKdPKPdS4_S4_EEvT0_S7_S7_T1_bT2_lS7_S7_lbT3_lS7_S7_lS8_T4_lS7_S7_l, .Lfunc_end56-_ZN9rocsolver6v33100L11gemm_kernelIdlPKdPKPdS4_S4_EEvT0_S7_S7_T1_bT2_lS7_S7_lbT3_lS7_S7_lS8_T4_lS7_S7_l
                                        ; -- End function
	.set _ZN9rocsolver6v33100L11gemm_kernelIdlPKdPKPdS4_S4_EEvT0_S7_S7_T1_bT2_lS7_S7_lbT3_lS7_S7_lS8_T4_lS7_S7_l.num_vgpr, 14
	.set _ZN9rocsolver6v33100L11gemm_kernelIdlPKdPKPdS4_S4_EEvT0_S7_S7_T1_bT2_lS7_S7_lbT3_lS7_S7_lS8_T4_lS7_S7_l.num_agpr, 0
	.set _ZN9rocsolver6v33100L11gemm_kernelIdlPKdPKPdS4_S4_EEvT0_S7_S7_T1_bT2_lS7_S7_lbT3_lS7_S7_lS8_T4_lS7_S7_l.numbered_sgpr, 32
	.set _ZN9rocsolver6v33100L11gemm_kernelIdlPKdPKPdS4_S4_EEvT0_S7_S7_T1_bT2_lS7_S7_lbT3_lS7_S7_lS8_T4_lS7_S7_l.num_named_barrier, 0
	.set _ZN9rocsolver6v33100L11gemm_kernelIdlPKdPKPdS4_S4_EEvT0_S7_S7_T1_bT2_lS7_S7_lbT3_lS7_S7_lS8_T4_lS7_S7_l.private_seg_size, 0
	.set _ZN9rocsolver6v33100L11gemm_kernelIdlPKdPKPdS4_S4_EEvT0_S7_S7_T1_bT2_lS7_S7_lbT3_lS7_S7_lS8_T4_lS7_S7_l.uses_vcc, 1
	.set _ZN9rocsolver6v33100L11gemm_kernelIdlPKdPKPdS4_S4_EEvT0_S7_S7_T1_bT2_lS7_S7_lbT3_lS7_S7_lS8_T4_lS7_S7_l.uses_flat_scratch, 0
	.set _ZN9rocsolver6v33100L11gemm_kernelIdlPKdPKPdS4_S4_EEvT0_S7_S7_T1_bT2_lS7_S7_lbT3_lS7_S7_lS8_T4_lS7_S7_l.has_dyn_sized_stack, 0
	.set _ZN9rocsolver6v33100L11gemm_kernelIdlPKdPKPdS4_S4_EEvT0_S7_S7_T1_bT2_lS7_S7_lbT3_lS7_S7_lS8_T4_lS7_S7_l.has_recursion, 0
	.set _ZN9rocsolver6v33100L11gemm_kernelIdlPKdPKPdS4_S4_EEvT0_S7_S7_T1_bT2_lS7_S7_lbT3_lS7_S7_lS8_T4_lS7_S7_l.has_indirect_call, 0
	.section	.AMDGPU.csdata,"",@progbits
; Kernel info:
; codeLenInByte = 564
; TotalNumSgprs: 34
; NumVgprs: 14
; ScratchSize: 0
; MemoryBound: 0
; FloatMode: 240
; IeeeMode: 1
; LDSByteSize: 0 bytes/workgroup (compile time only)
; SGPRBlocks: 0
; VGPRBlocks: 0
; NumSGPRsForWavesPerEU: 34
; NumVGPRsForWavesPerEU: 14
; NamedBarCnt: 0
; Occupancy: 16
; WaveLimiterHint : 0
; COMPUTE_PGM_RSRC2:SCRATCH_EN: 0
; COMPUTE_PGM_RSRC2:USER_SGPR: 2
; COMPUTE_PGM_RSRC2:TRAP_HANDLER: 0
; COMPUTE_PGM_RSRC2:TGID_X_EN: 1
; COMPUTE_PGM_RSRC2:TGID_Y_EN: 1
; COMPUTE_PGM_RSRC2:TGID_Z_EN: 1
; COMPUTE_PGM_RSRC2:TIDIG_COMP_CNT: 1
	.section	.text._ZN9rocsolver6v33100L11gemm_kernelIdldPKPdS2_S2_EEvT0_S5_S5_T1_bT2_lS5_S5_lbT3_lS5_S5_lS6_T4_lS5_S5_l,"axG",@progbits,_ZN9rocsolver6v33100L11gemm_kernelIdldPKPdS2_S2_EEvT0_S5_S5_T1_bT2_lS5_S5_lbT3_lS5_S5_lS6_T4_lS5_S5_l,comdat
	.globl	_ZN9rocsolver6v33100L11gemm_kernelIdldPKPdS2_S2_EEvT0_S5_S5_T1_bT2_lS5_S5_lbT3_lS5_S5_lS6_T4_lS5_S5_l ; -- Begin function _ZN9rocsolver6v33100L11gemm_kernelIdldPKPdS2_S2_EEvT0_S5_S5_T1_bT2_lS5_S5_lbT3_lS5_S5_lS6_T4_lS5_S5_l
	.p2align	8
	.type	_ZN9rocsolver6v33100L11gemm_kernelIdldPKPdS2_S2_EEvT0_S5_S5_T1_bT2_lS5_S5_lbT3_lS5_S5_lS6_T4_lS5_S5_l,@function
_ZN9rocsolver6v33100L11gemm_kernelIdldPKPdS2_S2_EEvT0_S5_S5_T1_bT2_lS5_S5_lbT3_lS5_S5_lS6_T4_lS5_S5_l: ; @_ZN9rocsolver6v33100L11gemm_kernelIdldPKPdS2_S2_EEvT0_S5_S5_T1_bT2_lS5_S5_lbT3_lS5_S5_lS6_T4_lS5_S5_l
; %bb.0:
	s_load_b32 s2, s[0:1], 0xbc
	s_bfe_u32 s4, ttmp6, 0x40010
	s_bfe_u32 s7, ttmp6, 0x4000c
	s_and_b32 s3, ttmp7, 0xffff
	s_add_co_i32 s4, s4, 1
	s_add_co_i32 s7, s7, 1
	s_bfe_u32 s5, ttmp6, 0x40004
	s_and_b32 s6, ttmp6, 15
	s_mul_i32 s4, s3, s4
	s_mul_i32 s7, ttmp9, s7
	s_getreg_b32 s24, hwreg(HW_REG_IB_STS2, 6, 4)
	v_mov_b32_e32 v5, 0
	v_and_b32_e32 v4, 0x3ff, v0
	s_add_co_i32 s5, s5, s4
	s_add_co_i32 s6, s6, s7
	s_load_b256 s[16:23], s[0:1], 0x0
	s_wait_kmcnt 0x0
	s_lshr_b32 s4, s2, 16
	s_and_b32 s2, s2, 0xffff
	s_cmp_eq_u32 s24, 0
	s_cselect_b32 s6, ttmp9, s6
	s_delay_alu instid0(SALU_CYCLE_1) | instskip(SKIP_3) | instid1(VALU_DEP_1)
	v_mad_nc_u64_u32 v[2:3], s2, s6, v[4:5]
	v_bfe_u32 v4, v0, 10, 10
	s_cselect_b32 s2, s3, s5
	s_mov_b32 s3, 0
	v_mad_nc_u64_u32 v[0:1], s4, s2, v[4:5]
	s_delay_alu instid0(VALU_DEP_3) | instskip(NEXT) | instid1(VALU_DEP_2)
	v_cmp_gt_i64_e32 vcc_lo, s[16:17], v[2:3]
	v_cmp_gt_i64_e64 s2, s[18:19], v[0:1]
	s_and_b32 s2, vcc_lo, s2
	s_delay_alu instid0(SALU_CYCLE_1)
	s_and_saveexec_b32 s4, s2
	s_cbranch_execz .LBB57_6
; %bb.1:
	s_load_b512 s[4:19], s[0:1], 0x58
	s_bfe_u32 s2, ttmp6, 0x40014
	s_lshr_b32 s25, ttmp7, 16
	s_add_co_i32 s2, s2, 1
	v_cmp_lt_i64_e64 s26, s[20:21], 1
	s_mul_i32 s2, s25, s2
	s_bfe_u32 s27, ttmp6, 0x40008
	s_delay_alu instid0(SALU_CYCLE_1)
	s_add_co_i32 s27, s27, s2
	s_cmp_eq_u32 s24, 0
	s_cselect_b32 s2, s25, s27
	s_and_b32 vcc_lo, exec_lo, s26
	s_cbranch_vccnz .LBB57_4
; %bb.2:
	s_load_b256 s[24:31], s[0:1], 0x28
	s_wait_kmcnt 0x0
	v_mul_u64_e32 v[8:9], s[10:11], v[0:1]
	s_mul_u64 s[12:13], s[12:13], s[2:3]
	s_lshl_b64 s[6:7], s[6:7], 3
	s_lshl_b64 s[12:13], s[12:13], 3
	v_mov_b64_e32 v[4:5], 0
	s_add_nc_u64 s[4:5], s[4:5], s[12:13]
	s_delay_alu instid0(SALU_CYCLE_1)
	s_add_nc_u64 s[4:5], s[4:5], s[6:7]
	v_mul_u64_e32 v[6:7], s[28:29], v[2:3]
	s_load_b64 s[10:11], s[24:25], s2 offset:0x0 scale_offset
	s_wait_xcnt 0x0
	s_lshl_b64 s[24:25], s[26:27], 3
	s_lshl_b64 s[6:7], s[30:31], 3
	s_delay_alu instid0(VALU_DEP_3)
	v_lshl_add_u64 v[8:9], v[8:9], 3, s[4:5]
	s_lshl_b64 s[4:5], s[8:9], 3
	s_wait_kmcnt 0x0
	s_add_nc_u64 s[10:11], s[10:11], s[24:25]
	s_delay_alu instid0(VALU_DEP_2) | instid1(SALU_CYCLE_1)
	v_lshl_add_u64 v[6:7], v[6:7], 3, s[10:11]
.LBB57_3:                               ; =>This Inner Loop Header: Depth=1
	flat_load_b64 v[10:11], v[6:7]
	global_load_b64 v[12:13], v[8:9], off
	s_wait_xcnt 0x0
	v_add_nc_u64_e32 v[8:9], s[4:5], v[8:9]
	v_add_nc_u64_e32 v[6:7], s[6:7], v[6:7]
	s_add_nc_u64 s[20:21], s[20:21], -1
	s_delay_alu instid0(SALU_CYCLE_1)
	s_cmp_eq_u64 s[20:21], 0
	s_wait_loadcnt_dscnt 0x0
	v_fmac_f64_e32 v[4:5], v[10:11], v[12:13]
	s_cbranch_scc0 .LBB57_3
	s_branch .LBB57_5
.LBB57_4:
	v_mov_b64_e32 v[4:5], 0
.LBB57_5:
	s_wait_kmcnt 0x0
	s_clause 0x1
	s_load_b128 s[4:7], s[0:1], 0x98
	s_load_b64 s[8:9], s[0:1], 0xa8
	s_wait_kmcnt 0x0
	v_mul_u64_e32 v[2:3], s[4:5], v[2:3]
	v_mul_u64_e32 v[0:1], s[6:7], v[0:1]
	s_mul_u64 s[0:1], s[8:9], s[2:3]
	s_lshl_b64 s[2:3], s[18:19], 3
	s_lshl_b64 s[0:1], s[0:1], 3
	s_delay_alu instid0(SALU_CYCLE_1) | instskip(NEXT) | instid1(SALU_CYCLE_1)
	s_add_nc_u64 s[0:1], s[16:17], s[0:1]
	s_add_nc_u64 s[0:1], s[0:1], s[2:3]
	s_delay_alu instid0(VALU_DEP_2) | instid1(SALU_CYCLE_1)
	v_lshl_add_u64 v[2:3], v[2:3], 3, s[0:1]
	s_delay_alu instid0(VALU_DEP_1) | instskip(SKIP_3) | instid1(VALU_DEP_1)
	v_lshl_add_u64 v[0:1], v[0:1], 3, v[2:3]
	global_load_b64 v[2:3], v[0:1], off
	s_wait_loadcnt 0x0
	v_mul_f64_e32 v[2:3], s[14:15], v[2:3]
	v_fmac_f64_e32 v[2:3], s[22:23], v[4:5]
	global_store_b64 v[0:1], v[2:3], off
.LBB57_6:
	s_endpgm
	.section	.rodata,"a",@progbits
	.p2align	6, 0x0
	.amdhsa_kernel _ZN9rocsolver6v33100L11gemm_kernelIdldPKPdS2_S2_EEvT0_S5_S5_T1_bT2_lS5_S5_lbT3_lS5_S5_lS6_T4_lS5_S5_l
		.amdhsa_group_segment_fixed_size 0
		.amdhsa_private_segment_fixed_size 0
		.amdhsa_kernarg_size 432
		.amdhsa_user_sgpr_count 2
		.amdhsa_user_sgpr_dispatch_ptr 0
		.amdhsa_user_sgpr_queue_ptr 0
		.amdhsa_user_sgpr_kernarg_segment_ptr 1
		.amdhsa_user_sgpr_dispatch_id 0
		.amdhsa_user_sgpr_kernarg_preload_length 0
		.amdhsa_user_sgpr_kernarg_preload_offset 0
		.amdhsa_user_sgpr_private_segment_size 0
		.amdhsa_wavefront_size32 1
		.amdhsa_uses_dynamic_stack 0
		.amdhsa_enable_private_segment 0
		.amdhsa_system_sgpr_workgroup_id_x 1
		.amdhsa_system_sgpr_workgroup_id_y 1
		.amdhsa_system_sgpr_workgroup_id_z 1
		.amdhsa_system_sgpr_workgroup_info 0
		.amdhsa_system_vgpr_workitem_id 1
		.amdhsa_next_free_vgpr 14
		.amdhsa_next_free_sgpr 32
		.amdhsa_named_barrier_count 0
		.amdhsa_reserve_vcc 1
		.amdhsa_float_round_mode_32 0
		.amdhsa_float_round_mode_16_64 0
		.amdhsa_float_denorm_mode_32 3
		.amdhsa_float_denorm_mode_16_64 3
		.amdhsa_fp16_overflow 0
		.amdhsa_memory_ordered 1
		.amdhsa_forward_progress 1
		.amdhsa_inst_pref_size 5
		.amdhsa_round_robin_scheduling 0
		.amdhsa_exception_fp_ieee_invalid_op 0
		.amdhsa_exception_fp_denorm_src 0
		.amdhsa_exception_fp_ieee_div_zero 0
		.amdhsa_exception_fp_ieee_overflow 0
		.amdhsa_exception_fp_ieee_underflow 0
		.amdhsa_exception_fp_ieee_inexact 0
		.amdhsa_exception_int_div_zero 0
	.end_amdhsa_kernel
	.section	.text._ZN9rocsolver6v33100L11gemm_kernelIdldPKPdS2_S2_EEvT0_S5_S5_T1_bT2_lS5_S5_lbT3_lS5_S5_lS6_T4_lS5_S5_l,"axG",@progbits,_ZN9rocsolver6v33100L11gemm_kernelIdldPKPdS2_S2_EEvT0_S5_S5_T1_bT2_lS5_S5_lbT3_lS5_S5_lS6_T4_lS5_S5_l,comdat
.Lfunc_end57:
	.size	_ZN9rocsolver6v33100L11gemm_kernelIdldPKPdS2_S2_EEvT0_S5_S5_T1_bT2_lS5_S5_lbT3_lS5_S5_lS6_T4_lS5_S5_l, .Lfunc_end57-_ZN9rocsolver6v33100L11gemm_kernelIdldPKPdS2_S2_EEvT0_S5_S5_T1_bT2_lS5_S5_lbT3_lS5_S5_lS6_T4_lS5_S5_l
                                        ; -- End function
	.set _ZN9rocsolver6v33100L11gemm_kernelIdldPKPdS2_S2_EEvT0_S5_S5_T1_bT2_lS5_S5_lbT3_lS5_S5_lS6_T4_lS5_S5_l.num_vgpr, 14
	.set _ZN9rocsolver6v33100L11gemm_kernelIdldPKPdS2_S2_EEvT0_S5_S5_T1_bT2_lS5_S5_lbT3_lS5_S5_lS6_T4_lS5_S5_l.num_agpr, 0
	.set _ZN9rocsolver6v33100L11gemm_kernelIdldPKPdS2_S2_EEvT0_S5_S5_T1_bT2_lS5_S5_lbT3_lS5_S5_lS6_T4_lS5_S5_l.numbered_sgpr, 32
	.set _ZN9rocsolver6v33100L11gemm_kernelIdldPKPdS2_S2_EEvT0_S5_S5_T1_bT2_lS5_S5_lbT3_lS5_S5_lS6_T4_lS5_S5_l.num_named_barrier, 0
	.set _ZN9rocsolver6v33100L11gemm_kernelIdldPKPdS2_S2_EEvT0_S5_S5_T1_bT2_lS5_S5_lbT3_lS5_S5_lS6_T4_lS5_S5_l.private_seg_size, 0
	.set _ZN9rocsolver6v33100L11gemm_kernelIdldPKPdS2_S2_EEvT0_S5_S5_T1_bT2_lS5_S5_lbT3_lS5_S5_lS6_T4_lS5_S5_l.uses_vcc, 1
	.set _ZN9rocsolver6v33100L11gemm_kernelIdldPKPdS2_S2_EEvT0_S5_S5_T1_bT2_lS5_S5_lbT3_lS5_S5_lS6_T4_lS5_S5_l.uses_flat_scratch, 0
	.set _ZN9rocsolver6v33100L11gemm_kernelIdldPKPdS2_S2_EEvT0_S5_S5_T1_bT2_lS5_S5_lbT3_lS5_S5_lS6_T4_lS5_S5_l.has_dyn_sized_stack, 0
	.set _ZN9rocsolver6v33100L11gemm_kernelIdldPKPdS2_S2_EEvT0_S5_S5_T1_bT2_lS5_S5_lbT3_lS5_S5_lS6_T4_lS5_S5_l.has_recursion, 0
	.set _ZN9rocsolver6v33100L11gemm_kernelIdldPKPdS2_S2_EEvT0_S5_S5_T1_bT2_lS5_S5_lbT3_lS5_S5_lS6_T4_lS5_S5_l.has_indirect_call, 0
	.section	.AMDGPU.csdata,"",@progbits
; Kernel info:
; codeLenInByte = 548
; TotalNumSgprs: 34
; NumVgprs: 14
; ScratchSize: 0
; MemoryBound: 0
; FloatMode: 240
; IeeeMode: 1
; LDSByteSize: 0 bytes/workgroup (compile time only)
; SGPRBlocks: 0
; VGPRBlocks: 0
; NumSGPRsForWavesPerEU: 34
; NumVGPRsForWavesPerEU: 14
; NamedBarCnt: 0
; Occupancy: 16
; WaveLimiterHint : 0
; COMPUTE_PGM_RSRC2:SCRATCH_EN: 0
; COMPUTE_PGM_RSRC2:USER_SGPR: 2
; COMPUTE_PGM_RSRC2:TRAP_HANDLER: 0
; COMPUTE_PGM_RSRC2:TGID_X_EN: 1
; COMPUTE_PGM_RSRC2:TGID_Y_EN: 1
; COMPUTE_PGM_RSRC2:TGID_Z_EN: 1
; COMPUTE_PGM_RSRC2:TIDIG_COMP_CNT: 1
	.section	.text._ZN9rocsolver6v33100L16mfma_gemm_kernelIdlPKdPdPKS4_S4_EEv18rocblas_operation_S7_T0_S8_S8_T1_T2_lS8_S8_lT3_lS8_S8_lS9_T4_lS8_S8_l,"axG",@progbits,_ZN9rocsolver6v33100L16mfma_gemm_kernelIdlPKdPdPKS4_S4_EEv18rocblas_operation_S7_T0_S8_S8_T1_T2_lS8_S8_lT3_lS8_S8_lS9_T4_lS8_S8_l,comdat
	.globl	_ZN9rocsolver6v33100L16mfma_gemm_kernelIdlPKdPdPKS4_S4_EEv18rocblas_operation_S7_T0_S8_S8_T1_T2_lS8_S8_lT3_lS8_S8_lS9_T4_lS8_S8_l ; -- Begin function _ZN9rocsolver6v33100L16mfma_gemm_kernelIdlPKdPdPKS4_S4_EEv18rocblas_operation_S7_T0_S8_S8_T1_T2_lS8_S8_lT3_lS8_S8_lS9_T4_lS8_S8_l
	.p2align	8
	.type	_ZN9rocsolver6v33100L16mfma_gemm_kernelIdlPKdPdPKS4_S4_EEv18rocblas_operation_S7_T0_S8_S8_T1_T2_lS8_S8_lT3_lS8_S8_lS9_T4_lS8_S8_l,@function
_ZN9rocsolver6v33100L16mfma_gemm_kernelIdlPKdPdPKS4_S4_EEv18rocblas_operation_S7_T0_S8_S8_T1_T2_lS8_S8_lT3_lS8_S8_lS9_T4_lS8_S8_l: ; @_ZN9rocsolver6v33100L16mfma_gemm_kernelIdlPKdPdPKS4_S4_EEv18rocblas_operation_S7_T0_S8_S8_T1_T2_lS8_S8_lT3_lS8_S8_lS9_T4_lS8_S8_l
; %bb.0:
	s_endpgm
	.section	.rodata,"a",@progbits
	.p2align	6, 0x0
	.amdhsa_kernel _ZN9rocsolver6v33100L16mfma_gemm_kernelIdlPKdPdPKS4_S4_EEv18rocblas_operation_S7_T0_S8_S8_T1_T2_lS8_S8_lT3_lS8_S8_lS9_T4_lS8_S8_l
		.amdhsa_group_segment_fixed_size 0
		.amdhsa_private_segment_fixed_size 0
		.amdhsa_kernarg_size 168
		.amdhsa_user_sgpr_count 2
		.amdhsa_user_sgpr_dispatch_ptr 0
		.amdhsa_user_sgpr_queue_ptr 0
		.amdhsa_user_sgpr_kernarg_segment_ptr 1
		.amdhsa_user_sgpr_dispatch_id 0
		.amdhsa_user_sgpr_kernarg_preload_length 0
		.amdhsa_user_sgpr_kernarg_preload_offset 0
		.amdhsa_user_sgpr_private_segment_size 0
		.amdhsa_wavefront_size32 1
		.amdhsa_uses_dynamic_stack 0
		.amdhsa_enable_private_segment 0
		.amdhsa_system_sgpr_workgroup_id_x 1
		.amdhsa_system_sgpr_workgroup_id_y 0
		.amdhsa_system_sgpr_workgroup_id_z 0
		.amdhsa_system_sgpr_workgroup_info 0
		.amdhsa_system_vgpr_workitem_id 0
		.amdhsa_next_free_vgpr 1
		.amdhsa_next_free_sgpr 1
		.amdhsa_named_barrier_count 0
		.amdhsa_reserve_vcc 0
		.amdhsa_float_round_mode_32 0
		.amdhsa_float_round_mode_16_64 0
		.amdhsa_float_denorm_mode_32 3
		.amdhsa_float_denorm_mode_16_64 3
		.amdhsa_fp16_overflow 0
		.amdhsa_memory_ordered 1
		.amdhsa_forward_progress 1
		.amdhsa_inst_pref_size 1
		.amdhsa_round_robin_scheduling 0
		.amdhsa_exception_fp_ieee_invalid_op 0
		.amdhsa_exception_fp_denorm_src 0
		.amdhsa_exception_fp_ieee_div_zero 0
		.amdhsa_exception_fp_ieee_overflow 0
		.amdhsa_exception_fp_ieee_underflow 0
		.amdhsa_exception_fp_ieee_inexact 0
		.amdhsa_exception_int_div_zero 0
	.end_amdhsa_kernel
	.section	.text._ZN9rocsolver6v33100L16mfma_gemm_kernelIdlPKdPdPKS4_S4_EEv18rocblas_operation_S7_T0_S8_S8_T1_T2_lS8_S8_lT3_lS8_S8_lS9_T4_lS8_S8_l,"axG",@progbits,_ZN9rocsolver6v33100L16mfma_gemm_kernelIdlPKdPdPKS4_S4_EEv18rocblas_operation_S7_T0_S8_S8_T1_T2_lS8_S8_lT3_lS8_S8_lS9_T4_lS8_S8_l,comdat
.Lfunc_end58:
	.size	_ZN9rocsolver6v33100L16mfma_gemm_kernelIdlPKdPdPKS4_S4_EEv18rocblas_operation_S7_T0_S8_S8_T1_T2_lS8_S8_lT3_lS8_S8_lS9_T4_lS8_S8_l, .Lfunc_end58-_ZN9rocsolver6v33100L16mfma_gemm_kernelIdlPKdPdPKS4_S4_EEv18rocblas_operation_S7_T0_S8_S8_T1_T2_lS8_S8_lT3_lS8_S8_lS9_T4_lS8_S8_l
                                        ; -- End function
	.set _ZN9rocsolver6v33100L16mfma_gemm_kernelIdlPKdPdPKS4_S4_EEv18rocblas_operation_S7_T0_S8_S8_T1_T2_lS8_S8_lT3_lS8_S8_lS9_T4_lS8_S8_l.num_vgpr, 0
	.set _ZN9rocsolver6v33100L16mfma_gemm_kernelIdlPKdPdPKS4_S4_EEv18rocblas_operation_S7_T0_S8_S8_T1_T2_lS8_S8_lT3_lS8_S8_lS9_T4_lS8_S8_l.num_agpr, 0
	.set _ZN9rocsolver6v33100L16mfma_gemm_kernelIdlPKdPdPKS4_S4_EEv18rocblas_operation_S7_T0_S8_S8_T1_T2_lS8_S8_lT3_lS8_S8_lS9_T4_lS8_S8_l.numbered_sgpr, 0
	.set _ZN9rocsolver6v33100L16mfma_gemm_kernelIdlPKdPdPKS4_S4_EEv18rocblas_operation_S7_T0_S8_S8_T1_T2_lS8_S8_lT3_lS8_S8_lS9_T4_lS8_S8_l.num_named_barrier, 0
	.set _ZN9rocsolver6v33100L16mfma_gemm_kernelIdlPKdPdPKS4_S4_EEv18rocblas_operation_S7_T0_S8_S8_T1_T2_lS8_S8_lT3_lS8_S8_lS9_T4_lS8_S8_l.private_seg_size, 0
	.set _ZN9rocsolver6v33100L16mfma_gemm_kernelIdlPKdPdPKS4_S4_EEv18rocblas_operation_S7_T0_S8_S8_T1_T2_lS8_S8_lT3_lS8_S8_lS9_T4_lS8_S8_l.uses_vcc, 0
	.set _ZN9rocsolver6v33100L16mfma_gemm_kernelIdlPKdPdPKS4_S4_EEv18rocblas_operation_S7_T0_S8_S8_T1_T2_lS8_S8_lT3_lS8_S8_lS9_T4_lS8_S8_l.uses_flat_scratch, 0
	.set _ZN9rocsolver6v33100L16mfma_gemm_kernelIdlPKdPdPKS4_S4_EEv18rocblas_operation_S7_T0_S8_S8_T1_T2_lS8_S8_lT3_lS8_S8_lS9_T4_lS8_S8_l.has_dyn_sized_stack, 0
	.set _ZN9rocsolver6v33100L16mfma_gemm_kernelIdlPKdPdPKS4_S4_EEv18rocblas_operation_S7_T0_S8_S8_T1_T2_lS8_S8_lT3_lS8_S8_lS9_T4_lS8_S8_l.has_recursion, 0
	.set _ZN9rocsolver6v33100L16mfma_gemm_kernelIdlPKdPdPKS4_S4_EEv18rocblas_operation_S7_T0_S8_S8_T1_T2_lS8_S8_lT3_lS8_S8_lS9_T4_lS8_S8_l.has_indirect_call, 0
	.section	.AMDGPU.csdata,"",@progbits
; Kernel info:
; codeLenInByte = 4
; TotalNumSgprs: 0
; NumVgprs: 0
; ScratchSize: 0
; MemoryBound: 0
; FloatMode: 240
; IeeeMode: 1
; LDSByteSize: 0 bytes/workgroup (compile time only)
; SGPRBlocks: 0
; VGPRBlocks: 0
; NumSGPRsForWavesPerEU: 1
; NumVGPRsForWavesPerEU: 1
; NamedBarCnt: 0
; Occupancy: 16
; WaveLimiterHint : 0
; COMPUTE_PGM_RSRC2:SCRATCH_EN: 0
; COMPUTE_PGM_RSRC2:USER_SGPR: 2
; COMPUTE_PGM_RSRC2:TRAP_HANDLER: 0
; COMPUTE_PGM_RSRC2:TGID_X_EN: 1
; COMPUTE_PGM_RSRC2:TGID_Y_EN: 0
; COMPUTE_PGM_RSRC2:TGID_Z_EN: 0
; COMPUTE_PGM_RSRC2:TIDIG_COMP_CNT: 0
	.section	.text._ZN9rocsolver6v33100L16mfma_gemm_kernelIdldPdPKS2_S2_EEv18rocblas_operation_S5_T0_S6_S6_T1_T2_lS6_S6_lT3_lS6_S6_lS7_T4_lS6_S6_l,"axG",@progbits,_ZN9rocsolver6v33100L16mfma_gemm_kernelIdldPdPKS2_S2_EEv18rocblas_operation_S5_T0_S6_S6_T1_T2_lS6_S6_lT3_lS6_S6_lS7_T4_lS6_S6_l,comdat
	.globl	_ZN9rocsolver6v33100L16mfma_gemm_kernelIdldPdPKS2_S2_EEv18rocblas_operation_S5_T0_S6_S6_T1_T2_lS6_S6_lT3_lS6_S6_lS7_T4_lS6_S6_l ; -- Begin function _ZN9rocsolver6v33100L16mfma_gemm_kernelIdldPdPKS2_S2_EEv18rocblas_operation_S5_T0_S6_S6_T1_T2_lS6_S6_lT3_lS6_S6_lS7_T4_lS6_S6_l
	.p2align	8
	.type	_ZN9rocsolver6v33100L16mfma_gemm_kernelIdldPdPKS2_S2_EEv18rocblas_operation_S5_T0_S6_S6_T1_T2_lS6_S6_lT3_lS6_S6_lS7_T4_lS6_S6_l,@function
_ZN9rocsolver6v33100L16mfma_gemm_kernelIdldPdPKS2_S2_EEv18rocblas_operation_S5_T0_S6_S6_T1_T2_lS6_S6_lT3_lS6_S6_lS7_T4_lS6_S6_l: ; @_ZN9rocsolver6v33100L16mfma_gemm_kernelIdldPdPKS2_S2_EEv18rocblas_operation_S5_T0_S6_S6_T1_T2_lS6_S6_lT3_lS6_S6_lS7_T4_lS6_S6_l
; %bb.0:
	s_endpgm
	.section	.rodata,"a",@progbits
	.p2align	6, 0x0
	.amdhsa_kernel _ZN9rocsolver6v33100L16mfma_gemm_kernelIdldPdPKS2_S2_EEv18rocblas_operation_S5_T0_S6_S6_T1_T2_lS6_S6_lT3_lS6_S6_lS7_T4_lS6_S6_l
		.amdhsa_group_segment_fixed_size 0
		.amdhsa_private_segment_fixed_size 0
		.amdhsa_kernarg_size 168
		.amdhsa_user_sgpr_count 2
		.amdhsa_user_sgpr_dispatch_ptr 0
		.amdhsa_user_sgpr_queue_ptr 0
		.amdhsa_user_sgpr_kernarg_segment_ptr 1
		.amdhsa_user_sgpr_dispatch_id 0
		.amdhsa_user_sgpr_kernarg_preload_length 0
		.amdhsa_user_sgpr_kernarg_preload_offset 0
		.amdhsa_user_sgpr_private_segment_size 0
		.amdhsa_wavefront_size32 1
		.amdhsa_uses_dynamic_stack 0
		.amdhsa_enable_private_segment 0
		.amdhsa_system_sgpr_workgroup_id_x 1
		.amdhsa_system_sgpr_workgroup_id_y 0
		.amdhsa_system_sgpr_workgroup_id_z 0
		.amdhsa_system_sgpr_workgroup_info 0
		.amdhsa_system_vgpr_workitem_id 0
		.amdhsa_next_free_vgpr 1
		.amdhsa_next_free_sgpr 1
		.amdhsa_named_barrier_count 0
		.amdhsa_reserve_vcc 0
		.amdhsa_float_round_mode_32 0
		.amdhsa_float_round_mode_16_64 0
		.amdhsa_float_denorm_mode_32 3
		.amdhsa_float_denorm_mode_16_64 3
		.amdhsa_fp16_overflow 0
		.amdhsa_memory_ordered 1
		.amdhsa_forward_progress 1
		.amdhsa_inst_pref_size 1
		.amdhsa_round_robin_scheduling 0
		.amdhsa_exception_fp_ieee_invalid_op 0
		.amdhsa_exception_fp_denorm_src 0
		.amdhsa_exception_fp_ieee_div_zero 0
		.amdhsa_exception_fp_ieee_overflow 0
		.amdhsa_exception_fp_ieee_underflow 0
		.amdhsa_exception_fp_ieee_inexact 0
		.amdhsa_exception_int_div_zero 0
	.end_amdhsa_kernel
	.section	.text._ZN9rocsolver6v33100L16mfma_gemm_kernelIdldPdPKS2_S2_EEv18rocblas_operation_S5_T0_S6_S6_T1_T2_lS6_S6_lT3_lS6_S6_lS7_T4_lS6_S6_l,"axG",@progbits,_ZN9rocsolver6v33100L16mfma_gemm_kernelIdldPdPKS2_S2_EEv18rocblas_operation_S5_T0_S6_S6_T1_T2_lS6_S6_lT3_lS6_S6_lS7_T4_lS6_S6_l,comdat
.Lfunc_end59:
	.size	_ZN9rocsolver6v33100L16mfma_gemm_kernelIdldPdPKS2_S2_EEv18rocblas_operation_S5_T0_S6_S6_T1_T2_lS6_S6_lT3_lS6_S6_lS7_T4_lS6_S6_l, .Lfunc_end59-_ZN9rocsolver6v33100L16mfma_gemm_kernelIdldPdPKS2_S2_EEv18rocblas_operation_S5_T0_S6_S6_T1_T2_lS6_S6_lT3_lS6_S6_lS7_T4_lS6_S6_l
                                        ; -- End function
	.set _ZN9rocsolver6v33100L16mfma_gemm_kernelIdldPdPKS2_S2_EEv18rocblas_operation_S5_T0_S6_S6_T1_T2_lS6_S6_lT3_lS6_S6_lS7_T4_lS6_S6_l.num_vgpr, 0
	.set _ZN9rocsolver6v33100L16mfma_gemm_kernelIdldPdPKS2_S2_EEv18rocblas_operation_S5_T0_S6_S6_T1_T2_lS6_S6_lT3_lS6_S6_lS7_T4_lS6_S6_l.num_agpr, 0
	.set _ZN9rocsolver6v33100L16mfma_gemm_kernelIdldPdPKS2_S2_EEv18rocblas_operation_S5_T0_S6_S6_T1_T2_lS6_S6_lT3_lS6_S6_lS7_T4_lS6_S6_l.numbered_sgpr, 0
	.set _ZN9rocsolver6v33100L16mfma_gemm_kernelIdldPdPKS2_S2_EEv18rocblas_operation_S5_T0_S6_S6_T1_T2_lS6_S6_lT3_lS6_S6_lS7_T4_lS6_S6_l.num_named_barrier, 0
	.set _ZN9rocsolver6v33100L16mfma_gemm_kernelIdldPdPKS2_S2_EEv18rocblas_operation_S5_T0_S6_S6_T1_T2_lS6_S6_lT3_lS6_S6_lS7_T4_lS6_S6_l.private_seg_size, 0
	.set _ZN9rocsolver6v33100L16mfma_gemm_kernelIdldPdPKS2_S2_EEv18rocblas_operation_S5_T0_S6_S6_T1_T2_lS6_S6_lT3_lS6_S6_lS7_T4_lS6_S6_l.uses_vcc, 0
	.set _ZN9rocsolver6v33100L16mfma_gemm_kernelIdldPdPKS2_S2_EEv18rocblas_operation_S5_T0_S6_S6_T1_T2_lS6_S6_lT3_lS6_S6_lS7_T4_lS6_S6_l.uses_flat_scratch, 0
	.set _ZN9rocsolver6v33100L16mfma_gemm_kernelIdldPdPKS2_S2_EEv18rocblas_operation_S5_T0_S6_S6_T1_T2_lS6_S6_lT3_lS6_S6_lS7_T4_lS6_S6_l.has_dyn_sized_stack, 0
	.set _ZN9rocsolver6v33100L16mfma_gemm_kernelIdldPdPKS2_S2_EEv18rocblas_operation_S5_T0_S6_S6_T1_T2_lS6_S6_lT3_lS6_S6_lS7_T4_lS6_S6_l.has_recursion, 0
	.set _ZN9rocsolver6v33100L16mfma_gemm_kernelIdldPdPKS2_S2_EEv18rocblas_operation_S5_T0_S6_S6_T1_T2_lS6_S6_lT3_lS6_S6_lS7_T4_lS6_S6_l.has_indirect_call, 0
	.section	.AMDGPU.csdata,"",@progbits
; Kernel info:
; codeLenInByte = 4
; TotalNumSgprs: 0
; NumVgprs: 0
; ScratchSize: 0
; MemoryBound: 0
; FloatMode: 240
; IeeeMode: 1
; LDSByteSize: 0 bytes/workgroup (compile time only)
; SGPRBlocks: 0
; VGPRBlocks: 0
; NumSGPRsForWavesPerEU: 1
; NumVGPRsForWavesPerEU: 1
; NamedBarCnt: 0
; Occupancy: 16
; WaveLimiterHint : 0
; COMPUTE_PGM_RSRC2:SCRATCH_EN: 0
; COMPUTE_PGM_RSRC2:USER_SGPR: 2
; COMPUTE_PGM_RSRC2:TRAP_HANDLER: 0
; COMPUTE_PGM_RSRC2:TGID_X_EN: 1
; COMPUTE_PGM_RSRC2:TGID_Y_EN: 0
; COMPUTE_PGM_RSRC2:TGID_Z_EN: 0
; COMPUTE_PGM_RSRC2:TIDIG_COMP_CNT: 0
	.section	.text._ZN9rocsolver6v33100L11gemm_kernelIdlPKdPdPKS4_S4_EEvT0_S7_S7_T1_bT2_lS7_S7_lbT3_lS7_S7_lS8_T4_lS7_S7_l,"axG",@progbits,_ZN9rocsolver6v33100L11gemm_kernelIdlPKdPdPKS4_S4_EEvT0_S7_S7_T1_bT2_lS7_S7_lbT3_lS7_S7_lS8_T4_lS7_S7_l,comdat
	.globl	_ZN9rocsolver6v33100L11gemm_kernelIdlPKdPdPKS4_S4_EEvT0_S7_S7_T1_bT2_lS7_S7_lbT3_lS7_S7_lS8_T4_lS7_S7_l ; -- Begin function _ZN9rocsolver6v33100L11gemm_kernelIdlPKdPdPKS4_S4_EEvT0_S7_S7_T1_bT2_lS7_S7_lbT3_lS7_S7_lS8_T4_lS7_S7_l
	.p2align	8
	.type	_ZN9rocsolver6v33100L11gemm_kernelIdlPKdPdPKS4_S4_EEvT0_S7_S7_T1_bT2_lS7_S7_lbT3_lS7_S7_lS8_T4_lS7_S7_l,@function
_ZN9rocsolver6v33100L11gemm_kernelIdlPKdPdPKS4_S4_EEvT0_S7_S7_T1_bT2_lS7_S7_lbT3_lS7_S7_lS8_T4_lS7_S7_l: ; @_ZN9rocsolver6v33100L11gemm_kernelIdlPKdPdPKS4_S4_EEvT0_S7_S7_T1_bT2_lS7_S7_lbT3_lS7_S7_lS8_T4_lS7_S7_l
; %bb.0:
	s_load_b32 s2, s[0:1], 0xbc
	s_bfe_u32 s12, ttmp6, 0x40010
	s_bfe_u32 s15, ttmp6, 0x4000c
	s_and_b32 s3, ttmp7, 0xffff
	s_add_co_i32 s12, s12, 1
	s_add_co_i32 s15, s15, 1
	s_bfe_u32 s13, ttmp6, 0x40004
	s_and_b32 s14, ttmp6, 15
	s_mul_i32 s12, s3, s12
	s_mul_i32 s15, ttmp9, s15
	s_getreg_b32 s20, hwreg(HW_REG_IB_STS2, 6, 4)
	v_mov_b32_e32 v5, 0
	v_and_b32_e32 v4, 0x3ff, v0
	s_add_co_i32 s13, s13, s12
	s_add_co_i32 s14, s14, s15
	s_load_b256 s[4:11], s[0:1], 0x0
	s_wait_kmcnt 0x0
	s_lshr_b32 s12, s2, 16
	s_and_b32 s2, s2, 0xffff
	s_cmp_eq_u32 s20, 0
	s_cselect_b32 s14, ttmp9, s14
	s_delay_alu instid0(SALU_CYCLE_1) | instskip(SKIP_3) | instid1(VALU_DEP_1)
	v_mad_nc_u64_u32 v[2:3], s2, s14, v[4:5]
	v_bfe_u32 v4, v0, 10, 10
	s_cselect_b32 s2, s3, s13
	s_mov_b32 s3, 0
	v_mad_nc_u64_u32 v[0:1], s12, s2, v[4:5]
	s_delay_alu instid0(VALU_DEP_3) | instskip(NEXT) | instid1(VALU_DEP_2)
	v_cmp_gt_i64_e32 vcc_lo, s[4:5], v[2:3]
	v_cmp_gt_i64_e64 s2, s[6:7], v[0:1]
	s_and_b32 s2, vcc_lo, s2
	s_delay_alu instid0(SALU_CYCLE_1)
	s_and_saveexec_b32 s4, s2
	s_cbranch_execz .LBB60_6
; %bb.1:
	s_clause 0x1
	s_load_b256 s[12:19], s[0:1], 0x80
	s_load_b128 s[4:7], s[0:1], 0xa0
	s_bfe_u32 s2, ttmp6, 0x40014
	s_lshr_b32 s21, ttmp7, 16
	s_add_co_i32 s2, s2, 1
	v_cmp_lt_i64_e64 s22, s[8:9], 1
	s_mul_i32 s2, s21, s2
	s_bfe_u32 s23, ttmp6, 0x40008
	s_delay_alu instid0(SALU_CYCLE_1)
	s_add_co_i32 s23, s23, s2
	s_cmp_eq_u32 s20, 0
	s_cselect_b32 s2, s21, s23
	s_and_b32 vcc_lo, exec_lo, s22
	s_cbranch_vccnz .LBB60_4
; %bb.2:
	s_clause 0x1
	s_load_b256 s[20:27], s[0:1], 0x28
	s_load_b256 s[36:43], s[0:1], 0x58
	v_mov_b64_e32 v[4:5], 0
	s_wait_kmcnt 0x0
	v_mul_u64_e32 v[6:7], s[24:25], v[2:3]
	v_mul_u64_e32 v[8:9], s[42:43], v[0:1]
	s_load_b64 s[24:25], s[0:1], 0x48
	s_load_b64 s[28:29], s[36:37], s2 offset:0x0 scale_offset
	s_lshl_b64 s[22:23], s[22:23], 3
	s_wait_kmcnt 0x0
	s_mul_u64 s[0:1], s[24:25], s[2:3]
	s_delay_alu instid0(SALU_CYCLE_1) | instskip(NEXT) | instid1(SALU_CYCLE_1)
	s_lshl_b64 s[0:1], s[0:1], 3
	s_add_nc_u64 s[0:1], s[20:21], s[0:1]
	s_lshl_b64 s[20:21], s[38:39], 3
	s_add_nc_u64 s[0:1], s[0:1], s[22:23]
	s_add_nc_u64 s[20:21], s[28:29], s[20:21]
	s_delay_alu instid0(VALU_DEP_2) | instskip(NEXT) | instid1(VALU_DEP_2)
	v_lshl_add_u64 v[6:7], v[6:7], 3, s[0:1]
	v_lshl_add_u64 v[8:9], v[8:9], 3, s[20:21]
	s_lshl_b64 s[0:1], s[40:41], 3
	s_lshl_b64 s[20:21], s[26:27], 3
.LBB60_3:                               ; =>This Inner Loop Header: Depth=1
	global_load_b64 v[10:11], v[6:7], off
	flat_load_b64 v[12:13], v[8:9]
	s_wait_xcnt 0x0
	v_add_nc_u64_e32 v[8:9], s[0:1], v[8:9]
	v_add_nc_u64_e32 v[6:7], s[20:21], v[6:7]
	s_add_nc_u64 s[8:9], s[8:9], -1
	s_delay_alu instid0(SALU_CYCLE_1)
	s_cmp_eq_u64 s[8:9], 0
	s_wait_loadcnt_dscnt 0x0
	v_fmac_f64_e32 v[4:5], v[10:11], v[12:13]
	s_cbranch_scc0 .LBB60_3
	s_branch .LBB60_5
.LBB60_4:
	v_mov_b64_e32 v[4:5], 0
.LBB60_5:
	s_wait_kmcnt 0x0
	v_mul_u64_e32 v[2:3], s[18:19], v[2:3]
	v_mul_u64_e32 v[0:1], s[4:5], v[0:1]
	s_mul_u64 s[2:3], s[6:7], s[2:3]
	s_lshl_b64 s[4:5], s[16:17], 3
	s_lshl_b64 s[2:3], s[2:3], 3
	s_load_b64 s[0:1], s[10:11], 0x0
	s_load_b64 s[8:9], s[12:13], 0x0
	s_add_nc_u64 s[2:3], s[14:15], s[2:3]
	s_delay_alu instid0(SALU_CYCLE_1)
	s_add_nc_u64 s[2:3], s[2:3], s[4:5]
	s_delay_alu instid0(VALU_DEP_2) | instid1(SALU_CYCLE_1)
	v_lshl_add_u64 v[2:3], v[2:3], 3, s[2:3]
	s_delay_alu instid0(VALU_DEP_1) | instskip(SKIP_4) | instid1(VALU_DEP_1)
	v_lshl_add_u64 v[0:1], v[0:1], 3, v[2:3]
	global_load_b64 v[2:3], v[0:1], off
	s_wait_loadcnt 0x0
	s_wait_kmcnt 0x0
	v_mul_f64_e32 v[2:3], s[8:9], v[2:3]
	v_fmac_f64_e32 v[2:3], s[0:1], v[4:5]
	global_store_b64 v[0:1], v[2:3], off
.LBB60_6:
	s_endpgm
	.section	.rodata,"a",@progbits
	.p2align	6, 0x0
	.amdhsa_kernel _ZN9rocsolver6v33100L11gemm_kernelIdlPKdPdPKS4_S4_EEvT0_S7_S7_T1_bT2_lS7_S7_lbT3_lS7_S7_lS8_T4_lS7_S7_l
		.amdhsa_group_segment_fixed_size 0
		.amdhsa_private_segment_fixed_size 0
		.amdhsa_kernarg_size 432
		.amdhsa_user_sgpr_count 2
		.amdhsa_user_sgpr_dispatch_ptr 0
		.amdhsa_user_sgpr_queue_ptr 0
		.amdhsa_user_sgpr_kernarg_segment_ptr 1
		.amdhsa_user_sgpr_dispatch_id 0
		.amdhsa_user_sgpr_kernarg_preload_length 0
		.amdhsa_user_sgpr_kernarg_preload_offset 0
		.amdhsa_user_sgpr_private_segment_size 0
		.amdhsa_wavefront_size32 1
		.amdhsa_uses_dynamic_stack 0
		.amdhsa_enable_private_segment 0
		.amdhsa_system_sgpr_workgroup_id_x 1
		.amdhsa_system_sgpr_workgroup_id_y 1
		.amdhsa_system_sgpr_workgroup_id_z 1
		.amdhsa_system_sgpr_workgroup_info 0
		.amdhsa_system_vgpr_workitem_id 1
		.amdhsa_next_free_vgpr 14
		.amdhsa_next_free_sgpr 44
		.amdhsa_named_barrier_count 0
		.amdhsa_reserve_vcc 1
		.amdhsa_float_round_mode_32 0
		.amdhsa_float_round_mode_16_64 0
		.amdhsa_float_denorm_mode_32 3
		.amdhsa_float_denorm_mode_16_64 3
		.amdhsa_fp16_overflow 0
		.amdhsa_memory_ordered 1
		.amdhsa_forward_progress 1
		.amdhsa_inst_pref_size 5
		.amdhsa_round_robin_scheduling 0
		.amdhsa_exception_fp_ieee_invalid_op 0
		.amdhsa_exception_fp_denorm_src 0
		.amdhsa_exception_fp_ieee_div_zero 0
		.amdhsa_exception_fp_ieee_overflow 0
		.amdhsa_exception_fp_ieee_underflow 0
		.amdhsa_exception_fp_ieee_inexact 0
		.amdhsa_exception_int_div_zero 0
	.end_amdhsa_kernel
	.section	.text._ZN9rocsolver6v33100L11gemm_kernelIdlPKdPdPKS4_S4_EEvT0_S7_S7_T1_bT2_lS7_S7_lbT3_lS7_S7_lS8_T4_lS7_S7_l,"axG",@progbits,_ZN9rocsolver6v33100L11gemm_kernelIdlPKdPdPKS4_S4_EEvT0_S7_S7_T1_bT2_lS7_S7_lbT3_lS7_S7_lS8_T4_lS7_S7_l,comdat
.Lfunc_end60:
	.size	_ZN9rocsolver6v33100L11gemm_kernelIdlPKdPdPKS4_S4_EEvT0_S7_S7_T1_bT2_lS7_S7_lbT3_lS7_S7_lS8_T4_lS7_S7_l, .Lfunc_end60-_ZN9rocsolver6v33100L11gemm_kernelIdlPKdPdPKS4_S4_EEvT0_S7_S7_T1_bT2_lS7_S7_lbT3_lS7_S7_lS8_T4_lS7_S7_l
                                        ; -- End function
	.set _ZN9rocsolver6v33100L11gemm_kernelIdlPKdPdPKS4_S4_EEvT0_S7_S7_T1_bT2_lS7_S7_lbT3_lS7_S7_lS8_T4_lS7_S7_l.num_vgpr, 14
	.set _ZN9rocsolver6v33100L11gemm_kernelIdlPKdPdPKS4_S4_EEvT0_S7_S7_T1_bT2_lS7_S7_lbT3_lS7_S7_lS8_T4_lS7_S7_l.num_agpr, 0
	.set _ZN9rocsolver6v33100L11gemm_kernelIdlPKdPdPKS4_S4_EEvT0_S7_S7_T1_bT2_lS7_S7_lbT3_lS7_S7_lS8_T4_lS7_S7_l.numbered_sgpr, 44
	.set _ZN9rocsolver6v33100L11gemm_kernelIdlPKdPdPKS4_S4_EEvT0_S7_S7_T1_bT2_lS7_S7_lbT3_lS7_S7_lS8_T4_lS7_S7_l.num_named_barrier, 0
	.set _ZN9rocsolver6v33100L11gemm_kernelIdlPKdPdPKS4_S4_EEvT0_S7_S7_T1_bT2_lS7_S7_lbT3_lS7_S7_lS8_T4_lS7_S7_l.private_seg_size, 0
	.set _ZN9rocsolver6v33100L11gemm_kernelIdlPKdPdPKS4_S4_EEvT0_S7_S7_T1_bT2_lS7_S7_lbT3_lS7_S7_lS8_T4_lS7_S7_l.uses_vcc, 1
	.set _ZN9rocsolver6v33100L11gemm_kernelIdlPKdPdPKS4_S4_EEvT0_S7_S7_T1_bT2_lS7_S7_lbT3_lS7_S7_lS8_T4_lS7_S7_l.uses_flat_scratch, 0
	.set _ZN9rocsolver6v33100L11gemm_kernelIdlPKdPdPKS4_S4_EEvT0_S7_S7_T1_bT2_lS7_S7_lbT3_lS7_S7_lS8_T4_lS7_S7_l.has_dyn_sized_stack, 0
	.set _ZN9rocsolver6v33100L11gemm_kernelIdlPKdPdPKS4_S4_EEvT0_S7_S7_T1_bT2_lS7_S7_lbT3_lS7_S7_lS8_T4_lS7_S7_l.has_recursion, 0
	.set _ZN9rocsolver6v33100L11gemm_kernelIdlPKdPdPKS4_S4_EEvT0_S7_S7_T1_bT2_lS7_S7_lbT3_lS7_S7_lS8_T4_lS7_S7_l.has_indirect_call, 0
	.section	.AMDGPU.csdata,"",@progbits
; Kernel info:
; codeLenInByte = 568
; TotalNumSgprs: 46
; NumVgprs: 14
; ScratchSize: 0
; MemoryBound: 0
; FloatMode: 240
; IeeeMode: 1
; LDSByteSize: 0 bytes/workgroup (compile time only)
; SGPRBlocks: 0
; VGPRBlocks: 0
; NumSGPRsForWavesPerEU: 46
; NumVGPRsForWavesPerEU: 14
; NamedBarCnt: 0
; Occupancy: 16
; WaveLimiterHint : 0
; COMPUTE_PGM_RSRC2:SCRATCH_EN: 0
; COMPUTE_PGM_RSRC2:USER_SGPR: 2
; COMPUTE_PGM_RSRC2:TRAP_HANDLER: 0
; COMPUTE_PGM_RSRC2:TGID_X_EN: 1
; COMPUTE_PGM_RSRC2:TGID_Y_EN: 1
; COMPUTE_PGM_RSRC2:TGID_Z_EN: 1
; COMPUTE_PGM_RSRC2:TIDIG_COMP_CNT: 1
	.section	.text._ZN9rocsolver6v33100L11gemm_kernelIdldPdPKS2_S2_EEvT0_S5_S5_T1_bT2_lS5_S5_lbT3_lS5_S5_lS6_T4_lS5_S5_l,"axG",@progbits,_ZN9rocsolver6v33100L11gemm_kernelIdldPdPKS2_S2_EEvT0_S5_S5_T1_bT2_lS5_S5_lbT3_lS5_S5_lS6_T4_lS5_S5_l,comdat
	.globl	_ZN9rocsolver6v33100L11gemm_kernelIdldPdPKS2_S2_EEvT0_S5_S5_T1_bT2_lS5_S5_lbT3_lS5_S5_lS6_T4_lS5_S5_l ; -- Begin function _ZN9rocsolver6v33100L11gemm_kernelIdldPdPKS2_S2_EEvT0_S5_S5_T1_bT2_lS5_S5_lbT3_lS5_S5_lS6_T4_lS5_S5_l
	.p2align	8
	.type	_ZN9rocsolver6v33100L11gemm_kernelIdldPdPKS2_S2_EEvT0_S5_S5_T1_bT2_lS5_S5_lbT3_lS5_S5_lS6_T4_lS5_S5_l,@function
_ZN9rocsolver6v33100L11gemm_kernelIdldPdPKS2_S2_EEvT0_S5_S5_T1_bT2_lS5_S5_lbT3_lS5_S5_lS6_T4_lS5_S5_l: ; @_ZN9rocsolver6v33100L11gemm_kernelIdldPdPKS2_S2_EEvT0_S5_S5_T1_bT2_lS5_S5_lbT3_lS5_S5_lS6_T4_lS5_S5_l
; %bb.0:
	s_load_b32 s2, s[0:1], 0xbc
	s_bfe_u32 s13, ttmp6, 0x40010
	s_bfe_u32 s16, ttmp6, 0x4000c
	s_and_b32 s3, ttmp7, 0xffff
	s_add_co_i32 s13, s13, 1
	s_add_co_i32 s16, s16, 1
	s_bfe_u32 s14, ttmp6, 0x40004
	s_and_b32 s15, ttmp6, 15
	s_mul_i32 s13, s3, s13
	s_mul_i32 s16, ttmp9, s16
	s_getreg_b32 s12, hwreg(HW_REG_IB_STS2, 6, 4)
	v_mov_b32_e32 v5, 0
	v_and_b32_e32 v4, 0x3ff, v0
	s_add_co_i32 s14, s14, s13
	s_add_co_i32 s15, s15, s16
	s_load_b256 s[4:11], s[0:1], 0x0
	s_wait_kmcnt 0x0
	s_lshr_b32 s13, s2, 16
	s_and_b32 s2, s2, 0xffff
	s_cmp_eq_u32 s12, 0
	s_cselect_b32 s15, ttmp9, s15
	s_delay_alu instid0(SALU_CYCLE_1) | instskip(SKIP_3) | instid1(VALU_DEP_1)
	v_mad_nc_u64_u32 v[2:3], s2, s15, v[4:5]
	v_bfe_u32 v4, v0, 10, 10
	s_cselect_b32 s2, s3, s14
	s_mov_b32 s3, 0
	v_mad_nc_u64_u32 v[0:1], s13, s2, v[4:5]
	s_delay_alu instid0(VALU_DEP_3) | instskip(NEXT) | instid1(VALU_DEP_2)
	v_cmp_gt_i64_e32 vcc_lo, s[4:5], v[2:3]
	v_cmp_gt_i64_e64 s2, s[6:7], v[0:1]
	s_and_b32 s2, vcc_lo, s2
	s_delay_alu instid0(SALU_CYCLE_1)
	s_and_saveexec_b32 s4, s2
	s_cbranch_execz .LBB61_6
; %bb.1:
	s_bfe_u32 s2, ttmp6, 0x40014
	s_lshr_b32 s4, ttmp7, 16
	s_add_co_i32 s2, s2, 1
	v_cmp_lt_i64_e64 s6, s[8:9], 1
	s_bfe_u32 s5, ttmp6, 0x40008
	s_mul_i32 s2, s4, s2
	s_delay_alu instid0(SALU_CYCLE_1)
	s_add_co_i32 s5, s5, s2
	s_cmp_eq_u32 s12, 0
	s_cselect_b32 s2, s4, s5
	s_and_b32 vcc_lo, exec_lo, s6
	s_cbranch_vccnz .LBB61_4
; %bb.2:
	s_clause 0x1
	s_load_b256 s[12:19], s[0:1], 0x28
	s_load_b256 s[20:27], s[0:1], 0x58
	v_mov_b64_e32 v[4:5], 0
	s_load_b64 s[4:5], s[0:1], 0x48
	s_wait_kmcnt 0x0
	s_load_b64 s[6:7], s[20:21], s2 offset:0x0 scale_offset
	v_mul_u64_e32 v[6:7], s[16:17], v[2:3]
	v_mul_u64_e32 v[8:9], s[26:27], v[0:1]
	s_lshl_b64 s[14:15], s[14:15], 3
	s_mul_u64 s[4:5], s[4:5], s[2:3]
	s_delay_alu instid0(SALU_CYCLE_1) | instskip(NEXT) | instid1(SALU_CYCLE_1)
	s_lshl_b64 s[4:5], s[4:5], 3
	s_add_nc_u64 s[4:5], s[12:13], s[4:5]
	s_lshl_b64 s[12:13], s[22:23], 3
	s_add_nc_u64 s[4:5], s[4:5], s[14:15]
	s_wait_kmcnt 0x0
	s_add_nc_u64 s[6:7], s[6:7], s[12:13]
	s_delay_alu instid0(VALU_DEP_2) | instskip(NEXT) | instid1(VALU_DEP_2)
	v_lshl_add_u64 v[6:7], v[6:7], 3, s[4:5]
	v_lshl_add_u64 v[8:9], v[8:9], 3, s[6:7]
	s_lshl_b64 s[4:5], s[24:25], 3
	s_lshl_b64 s[6:7], s[18:19], 3
.LBB61_3:                               ; =>This Inner Loop Header: Depth=1
	global_load_b64 v[10:11], v[6:7], off
	flat_load_b64 v[12:13], v[8:9]
	s_wait_xcnt 0x0
	v_add_nc_u64_e32 v[8:9], s[4:5], v[8:9]
	v_add_nc_u64_e32 v[6:7], s[6:7], v[6:7]
	s_add_nc_u64 s[8:9], s[8:9], -1
	s_delay_alu instid0(SALU_CYCLE_1)
	s_cmp_eq_u64 s[8:9], 0
	s_wait_loadcnt_dscnt 0x0
	v_fmac_f64_e32 v[4:5], v[10:11], v[12:13]
	s_cbranch_scc0 .LBB61_3
	s_branch .LBB61_5
.LBB61_4:
	v_mov_b64_e32 v[4:5], 0
.LBB61_5:
	s_clause 0x1
	s_load_b256 s[12:19], s[0:1], 0x80
	s_load_b128 s[4:7], s[0:1], 0xa0
	s_wait_kmcnt 0x0
	v_mul_u64_e32 v[2:3], s[18:19], v[2:3]
	v_mul_u64_e32 v[0:1], s[4:5], v[0:1]
	s_mul_u64 s[0:1], s[6:7], s[2:3]
	s_lshl_b64 s[2:3], s[16:17], 3
	s_lshl_b64 s[0:1], s[0:1], 3
	s_delay_alu instid0(SALU_CYCLE_1) | instskip(NEXT) | instid1(SALU_CYCLE_1)
	s_add_nc_u64 s[0:1], s[14:15], s[0:1]
	s_add_nc_u64 s[0:1], s[0:1], s[2:3]
	s_delay_alu instid0(VALU_DEP_2) | instid1(SALU_CYCLE_1)
	v_lshl_add_u64 v[2:3], v[2:3], 3, s[0:1]
	s_delay_alu instid0(VALU_DEP_1) | instskip(SKIP_3) | instid1(VALU_DEP_1)
	v_lshl_add_u64 v[0:1], v[0:1], 3, v[2:3]
	global_load_b64 v[2:3], v[0:1], off
	s_wait_loadcnt 0x0
	v_mul_f64_e32 v[2:3], s[12:13], v[2:3]
	v_fmac_f64_e32 v[2:3], s[10:11], v[4:5]
	global_store_b64 v[0:1], v[2:3], off
.LBB61_6:
	s_endpgm
	.section	.rodata,"a",@progbits
	.p2align	6, 0x0
	.amdhsa_kernel _ZN9rocsolver6v33100L11gemm_kernelIdldPdPKS2_S2_EEvT0_S5_S5_T1_bT2_lS5_S5_lbT3_lS5_S5_lS6_T4_lS5_S5_l
		.amdhsa_group_segment_fixed_size 0
		.amdhsa_private_segment_fixed_size 0
		.amdhsa_kernarg_size 432
		.amdhsa_user_sgpr_count 2
		.amdhsa_user_sgpr_dispatch_ptr 0
		.amdhsa_user_sgpr_queue_ptr 0
		.amdhsa_user_sgpr_kernarg_segment_ptr 1
		.amdhsa_user_sgpr_dispatch_id 0
		.amdhsa_user_sgpr_kernarg_preload_length 0
		.amdhsa_user_sgpr_kernarg_preload_offset 0
		.amdhsa_user_sgpr_private_segment_size 0
		.amdhsa_wavefront_size32 1
		.amdhsa_uses_dynamic_stack 0
		.amdhsa_enable_private_segment 0
		.amdhsa_system_sgpr_workgroup_id_x 1
		.amdhsa_system_sgpr_workgroup_id_y 1
		.amdhsa_system_sgpr_workgroup_id_z 1
		.amdhsa_system_sgpr_workgroup_info 0
		.amdhsa_system_vgpr_workitem_id 1
		.amdhsa_next_free_vgpr 14
		.amdhsa_next_free_sgpr 28
		.amdhsa_named_barrier_count 0
		.amdhsa_reserve_vcc 1
		.amdhsa_float_round_mode_32 0
		.amdhsa_float_round_mode_16_64 0
		.amdhsa_float_denorm_mode_32 3
		.amdhsa_float_denorm_mode_16_64 3
		.amdhsa_fp16_overflow 0
		.amdhsa_memory_ordered 1
		.amdhsa_forward_progress 1
		.amdhsa_inst_pref_size 5
		.amdhsa_round_robin_scheduling 0
		.amdhsa_exception_fp_ieee_invalid_op 0
		.amdhsa_exception_fp_denorm_src 0
		.amdhsa_exception_fp_ieee_div_zero 0
		.amdhsa_exception_fp_ieee_overflow 0
		.amdhsa_exception_fp_ieee_underflow 0
		.amdhsa_exception_fp_ieee_inexact 0
		.amdhsa_exception_int_div_zero 0
	.end_amdhsa_kernel
	.section	.text._ZN9rocsolver6v33100L11gemm_kernelIdldPdPKS2_S2_EEvT0_S5_S5_T1_bT2_lS5_S5_lbT3_lS5_S5_lS6_T4_lS5_S5_l,"axG",@progbits,_ZN9rocsolver6v33100L11gemm_kernelIdldPdPKS2_S2_EEvT0_S5_S5_T1_bT2_lS5_S5_lbT3_lS5_S5_lS6_T4_lS5_S5_l,comdat
.Lfunc_end61:
	.size	_ZN9rocsolver6v33100L11gemm_kernelIdldPdPKS2_S2_EEvT0_S5_S5_T1_bT2_lS5_S5_lbT3_lS5_S5_lS6_T4_lS5_S5_l, .Lfunc_end61-_ZN9rocsolver6v33100L11gemm_kernelIdldPdPKS2_S2_EEvT0_S5_S5_T1_bT2_lS5_S5_lbT3_lS5_S5_lS6_T4_lS5_S5_l
                                        ; -- End function
	.set _ZN9rocsolver6v33100L11gemm_kernelIdldPdPKS2_S2_EEvT0_S5_S5_T1_bT2_lS5_S5_lbT3_lS5_S5_lS6_T4_lS5_S5_l.num_vgpr, 14
	.set _ZN9rocsolver6v33100L11gemm_kernelIdldPdPKS2_S2_EEvT0_S5_S5_T1_bT2_lS5_S5_lbT3_lS5_S5_lS6_T4_lS5_S5_l.num_agpr, 0
	.set _ZN9rocsolver6v33100L11gemm_kernelIdldPdPKS2_S2_EEvT0_S5_S5_T1_bT2_lS5_S5_lbT3_lS5_S5_lS6_T4_lS5_S5_l.numbered_sgpr, 28
	.set _ZN9rocsolver6v33100L11gemm_kernelIdldPdPKS2_S2_EEvT0_S5_S5_T1_bT2_lS5_S5_lbT3_lS5_S5_lS6_T4_lS5_S5_l.num_named_barrier, 0
	.set _ZN9rocsolver6v33100L11gemm_kernelIdldPdPKS2_S2_EEvT0_S5_S5_T1_bT2_lS5_S5_lbT3_lS5_S5_lS6_T4_lS5_S5_l.private_seg_size, 0
	.set _ZN9rocsolver6v33100L11gemm_kernelIdldPdPKS2_S2_EEvT0_S5_S5_T1_bT2_lS5_S5_lbT3_lS5_S5_lS6_T4_lS5_S5_l.uses_vcc, 1
	.set _ZN9rocsolver6v33100L11gemm_kernelIdldPdPKS2_S2_EEvT0_S5_S5_T1_bT2_lS5_S5_lbT3_lS5_S5_lS6_T4_lS5_S5_l.uses_flat_scratch, 0
	.set _ZN9rocsolver6v33100L11gemm_kernelIdldPdPKS2_S2_EEvT0_S5_S5_T1_bT2_lS5_S5_lbT3_lS5_S5_lS6_T4_lS5_S5_l.has_dyn_sized_stack, 0
	.set _ZN9rocsolver6v33100L11gemm_kernelIdldPdPKS2_S2_EEvT0_S5_S5_T1_bT2_lS5_S5_lbT3_lS5_S5_lS6_T4_lS5_S5_l.has_recursion, 0
	.set _ZN9rocsolver6v33100L11gemm_kernelIdldPdPKS2_S2_EEvT0_S5_S5_T1_bT2_lS5_S5_lbT3_lS5_S5_lS6_T4_lS5_S5_l.has_indirect_call, 0
	.section	.AMDGPU.csdata,"",@progbits
; Kernel info:
; codeLenInByte = 548
; TotalNumSgprs: 30
; NumVgprs: 14
; ScratchSize: 0
; MemoryBound: 0
; FloatMode: 240
; IeeeMode: 1
; LDSByteSize: 0 bytes/workgroup (compile time only)
; SGPRBlocks: 0
; VGPRBlocks: 0
; NumSGPRsForWavesPerEU: 30
; NumVGPRsForWavesPerEU: 14
; NamedBarCnt: 0
; Occupancy: 16
; WaveLimiterHint : 0
; COMPUTE_PGM_RSRC2:SCRATCH_EN: 0
; COMPUTE_PGM_RSRC2:USER_SGPR: 2
; COMPUTE_PGM_RSRC2:TRAP_HANDLER: 0
; COMPUTE_PGM_RSRC2:TGID_X_EN: 1
; COMPUTE_PGM_RSRC2:TGID_Y_EN: 1
; COMPUTE_PGM_RSRC2:TGID_Z_EN: 1
; COMPUTE_PGM_RSRC2:TIDIG_COMP_CNT: 1
	.section	.text._ZN9rocsolver6v33100L16mfma_gemm_kernelIdlPKdPdS4_PKS4_EEv18rocblas_operation_S7_T0_S8_S8_T1_T2_lS8_S8_lT3_lS8_S8_lS9_T4_lS8_S8_l,"axG",@progbits,_ZN9rocsolver6v33100L16mfma_gemm_kernelIdlPKdPdS4_PKS4_EEv18rocblas_operation_S7_T0_S8_S8_T1_T2_lS8_S8_lT3_lS8_S8_lS9_T4_lS8_S8_l,comdat
	.globl	_ZN9rocsolver6v33100L16mfma_gemm_kernelIdlPKdPdS4_PKS4_EEv18rocblas_operation_S7_T0_S8_S8_T1_T2_lS8_S8_lT3_lS8_S8_lS9_T4_lS8_S8_l ; -- Begin function _ZN9rocsolver6v33100L16mfma_gemm_kernelIdlPKdPdS4_PKS4_EEv18rocblas_operation_S7_T0_S8_S8_T1_T2_lS8_S8_lT3_lS8_S8_lS9_T4_lS8_S8_l
	.p2align	8
	.type	_ZN9rocsolver6v33100L16mfma_gemm_kernelIdlPKdPdS4_PKS4_EEv18rocblas_operation_S7_T0_S8_S8_T1_T2_lS8_S8_lT3_lS8_S8_lS9_T4_lS8_S8_l,@function
_ZN9rocsolver6v33100L16mfma_gemm_kernelIdlPKdPdS4_PKS4_EEv18rocblas_operation_S7_T0_S8_S8_T1_T2_lS8_S8_lT3_lS8_S8_lS9_T4_lS8_S8_l: ; @_ZN9rocsolver6v33100L16mfma_gemm_kernelIdlPKdPdS4_PKS4_EEv18rocblas_operation_S7_T0_S8_S8_T1_T2_lS8_S8_lT3_lS8_S8_lS9_T4_lS8_S8_l
; %bb.0:
	s_endpgm
	.section	.rodata,"a",@progbits
	.p2align	6, 0x0
	.amdhsa_kernel _ZN9rocsolver6v33100L16mfma_gemm_kernelIdlPKdPdS4_PKS4_EEv18rocblas_operation_S7_T0_S8_S8_T1_T2_lS8_S8_lT3_lS8_S8_lS9_T4_lS8_S8_l
		.amdhsa_group_segment_fixed_size 0
		.amdhsa_private_segment_fixed_size 0
		.amdhsa_kernarg_size 168
		.amdhsa_user_sgpr_count 2
		.amdhsa_user_sgpr_dispatch_ptr 0
		.amdhsa_user_sgpr_queue_ptr 0
		.amdhsa_user_sgpr_kernarg_segment_ptr 1
		.amdhsa_user_sgpr_dispatch_id 0
		.amdhsa_user_sgpr_kernarg_preload_length 0
		.amdhsa_user_sgpr_kernarg_preload_offset 0
		.amdhsa_user_sgpr_private_segment_size 0
		.amdhsa_wavefront_size32 1
		.amdhsa_uses_dynamic_stack 0
		.amdhsa_enable_private_segment 0
		.amdhsa_system_sgpr_workgroup_id_x 1
		.amdhsa_system_sgpr_workgroup_id_y 0
		.amdhsa_system_sgpr_workgroup_id_z 0
		.amdhsa_system_sgpr_workgroup_info 0
		.amdhsa_system_vgpr_workitem_id 0
		.amdhsa_next_free_vgpr 1
		.amdhsa_next_free_sgpr 1
		.amdhsa_named_barrier_count 0
		.amdhsa_reserve_vcc 0
		.amdhsa_float_round_mode_32 0
		.amdhsa_float_round_mode_16_64 0
		.amdhsa_float_denorm_mode_32 3
		.amdhsa_float_denorm_mode_16_64 3
		.amdhsa_fp16_overflow 0
		.amdhsa_memory_ordered 1
		.amdhsa_forward_progress 1
		.amdhsa_inst_pref_size 1
		.amdhsa_round_robin_scheduling 0
		.amdhsa_exception_fp_ieee_invalid_op 0
		.amdhsa_exception_fp_denorm_src 0
		.amdhsa_exception_fp_ieee_div_zero 0
		.amdhsa_exception_fp_ieee_overflow 0
		.amdhsa_exception_fp_ieee_underflow 0
		.amdhsa_exception_fp_ieee_inexact 0
		.amdhsa_exception_int_div_zero 0
	.end_amdhsa_kernel
	.section	.text._ZN9rocsolver6v33100L16mfma_gemm_kernelIdlPKdPdS4_PKS4_EEv18rocblas_operation_S7_T0_S8_S8_T1_T2_lS8_S8_lT3_lS8_S8_lS9_T4_lS8_S8_l,"axG",@progbits,_ZN9rocsolver6v33100L16mfma_gemm_kernelIdlPKdPdS4_PKS4_EEv18rocblas_operation_S7_T0_S8_S8_T1_T2_lS8_S8_lT3_lS8_S8_lS9_T4_lS8_S8_l,comdat
.Lfunc_end62:
	.size	_ZN9rocsolver6v33100L16mfma_gemm_kernelIdlPKdPdS4_PKS4_EEv18rocblas_operation_S7_T0_S8_S8_T1_T2_lS8_S8_lT3_lS8_S8_lS9_T4_lS8_S8_l, .Lfunc_end62-_ZN9rocsolver6v33100L16mfma_gemm_kernelIdlPKdPdS4_PKS4_EEv18rocblas_operation_S7_T0_S8_S8_T1_T2_lS8_S8_lT3_lS8_S8_lS9_T4_lS8_S8_l
                                        ; -- End function
	.set _ZN9rocsolver6v33100L16mfma_gemm_kernelIdlPKdPdS4_PKS4_EEv18rocblas_operation_S7_T0_S8_S8_T1_T2_lS8_S8_lT3_lS8_S8_lS9_T4_lS8_S8_l.num_vgpr, 0
	.set _ZN9rocsolver6v33100L16mfma_gemm_kernelIdlPKdPdS4_PKS4_EEv18rocblas_operation_S7_T0_S8_S8_T1_T2_lS8_S8_lT3_lS8_S8_lS9_T4_lS8_S8_l.num_agpr, 0
	.set _ZN9rocsolver6v33100L16mfma_gemm_kernelIdlPKdPdS4_PKS4_EEv18rocblas_operation_S7_T0_S8_S8_T1_T2_lS8_S8_lT3_lS8_S8_lS9_T4_lS8_S8_l.numbered_sgpr, 0
	.set _ZN9rocsolver6v33100L16mfma_gemm_kernelIdlPKdPdS4_PKS4_EEv18rocblas_operation_S7_T0_S8_S8_T1_T2_lS8_S8_lT3_lS8_S8_lS9_T4_lS8_S8_l.num_named_barrier, 0
	.set _ZN9rocsolver6v33100L16mfma_gemm_kernelIdlPKdPdS4_PKS4_EEv18rocblas_operation_S7_T0_S8_S8_T1_T2_lS8_S8_lT3_lS8_S8_lS9_T4_lS8_S8_l.private_seg_size, 0
	.set _ZN9rocsolver6v33100L16mfma_gemm_kernelIdlPKdPdS4_PKS4_EEv18rocblas_operation_S7_T0_S8_S8_T1_T2_lS8_S8_lT3_lS8_S8_lS9_T4_lS8_S8_l.uses_vcc, 0
	.set _ZN9rocsolver6v33100L16mfma_gemm_kernelIdlPKdPdS4_PKS4_EEv18rocblas_operation_S7_T0_S8_S8_T1_T2_lS8_S8_lT3_lS8_S8_lS9_T4_lS8_S8_l.uses_flat_scratch, 0
	.set _ZN9rocsolver6v33100L16mfma_gemm_kernelIdlPKdPdS4_PKS4_EEv18rocblas_operation_S7_T0_S8_S8_T1_T2_lS8_S8_lT3_lS8_S8_lS9_T4_lS8_S8_l.has_dyn_sized_stack, 0
	.set _ZN9rocsolver6v33100L16mfma_gemm_kernelIdlPKdPdS4_PKS4_EEv18rocblas_operation_S7_T0_S8_S8_T1_T2_lS8_S8_lT3_lS8_S8_lS9_T4_lS8_S8_l.has_recursion, 0
	.set _ZN9rocsolver6v33100L16mfma_gemm_kernelIdlPKdPdS4_PKS4_EEv18rocblas_operation_S7_T0_S8_S8_T1_T2_lS8_S8_lT3_lS8_S8_lS9_T4_lS8_S8_l.has_indirect_call, 0
	.section	.AMDGPU.csdata,"",@progbits
; Kernel info:
; codeLenInByte = 4
; TotalNumSgprs: 0
; NumVgprs: 0
; ScratchSize: 0
; MemoryBound: 0
; FloatMode: 240
; IeeeMode: 1
; LDSByteSize: 0 bytes/workgroup (compile time only)
; SGPRBlocks: 0
; VGPRBlocks: 0
; NumSGPRsForWavesPerEU: 1
; NumVGPRsForWavesPerEU: 1
; NamedBarCnt: 0
; Occupancy: 16
; WaveLimiterHint : 0
; COMPUTE_PGM_RSRC2:SCRATCH_EN: 0
; COMPUTE_PGM_RSRC2:USER_SGPR: 2
; COMPUTE_PGM_RSRC2:TRAP_HANDLER: 0
; COMPUTE_PGM_RSRC2:TGID_X_EN: 1
; COMPUTE_PGM_RSRC2:TGID_Y_EN: 0
; COMPUTE_PGM_RSRC2:TGID_Z_EN: 0
; COMPUTE_PGM_RSRC2:TIDIG_COMP_CNT: 0
	.section	.text._ZN9rocsolver6v33100L16mfma_gemm_kernelIdldPdS2_PKS2_EEv18rocblas_operation_S5_T0_S6_S6_T1_T2_lS6_S6_lT3_lS6_S6_lS7_T4_lS6_S6_l,"axG",@progbits,_ZN9rocsolver6v33100L16mfma_gemm_kernelIdldPdS2_PKS2_EEv18rocblas_operation_S5_T0_S6_S6_T1_T2_lS6_S6_lT3_lS6_S6_lS7_T4_lS6_S6_l,comdat
	.globl	_ZN9rocsolver6v33100L16mfma_gemm_kernelIdldPdS2_PKS2_EEv18rocblas_operation_S5_T0_S6_S6_T1_T2_lS6_S6_lT3_lS6_S6_lS7_T4_lS6_S6_l ; -- Begin function _ZN9rocsolver6v33100L16mfma_gemm_kernelIdldPdS2_PKS2_EEv18rocblas_operation_S5_T0_S6_S6_T1_T2_lS6_S6_lT3_lS6_S6_lS7_T4_lS6_S6_l
	.p2align	8
	.type	_ZN9rocsolver6v33100L16mfma_gemm_kernelIdldPdS2_PKS2_EEv18rocblas_operation_S5_T0_S6_S6_T1_T2_lS6_S6_lT3_lS6_S6_lS7_T4_lS6_S6_l,@function
_ZN9rocsolver6v33100L16mfma_gemm_kernelIdldPdS2_PKS2_EEv18rocblas_operation_S5_T0_S6_S6_T1_T2_lS6_S6_lT3_lS6_S6_lS7_T4_lS6_S6_l: ; @_ZN9rocsolver6v33100L16mfma_gemm_kernelIdldPdS2_PKS2_EEv18rocblas_operation_S5_T0_S6_S6_T1_T2_lS6_S6_lT3_lS6_S6_lS7_T4_lS6_S6_l
; %bb.0:
	s_endpgm
	.section	.rodata,"a",@progbits
	.p2align	6, 0x0
	.amdhsa_kernel _ZN9rocsolver6v33100L16mfma_gemm_kernelIdldPdS2_PKS2_EEv18rocblas_operation_S5_T0_S6_S6_T1_T2_lS6_S6_lT3_lS6_S6_lS7_T4_lS6_S6_l
		.amdhsa_group_segment_fixed_size 0
		.amdhsa_private_segment_fixed_size 0
		.amdhsa_kernarg_size 168
		.amdhsa_user_sgpr_count 2
		.amdhsa_user_sgpr_dispatch_ptr 0
		.amdhsa_user_sgpr_queue_ptr 0
		.amdhsa_user_sgpr_kernarg_segment_ptr 1
		.amdhsa_user_sgpr_dispatch_id 0
		.amdhsa_user_sgpr_kernarg_preload_length 0
		.amdhsa_user_sgpr_kernarg_preload_offset 0
		.amdhsa_user_sgpr_private_segment_size 0
		.amdhsa_wavefront_size32 1
		.amdhsa_uses_dynamic_stack 0
		.amdhsa_enable_private_segment 0
		.amdhsa_system_sgpr_workgroup_id_x 1
		.amdhsa_system_sgpr_workgroup_id_y 0
		.amdhsa_system_sgpr_workgroup_id_z 0
		.amdhsa_system_sgpr_workgroup_info 0
		.amdhsa_system_vgpr_workitem_id 0
		.amdhsa_next_free_vgpr 1
		.amdhsa_next_free_sgpr 1
		.amdhsa_named_barrier_count 0
		.amdhsa_reserve_vcc 0
		.amdhsa_float_round_mode_32 0
		.amdhsa_float_round_mode_16_64 0
		.amdhsa_float_denorm_mode_32 3
		.amdhsa_float_denorm_mode_16_64 3
		.amdhsa_fp16_overflow 0
		.amdhsa_memory_ordered 1
		.amdhsa_forward_progress 1
		.amdhsa_inst_pref_size 1
		.amdhsa_round_robin_scheduling 0
		.amdhsa_exception_fp_ieee_invalid_op 0
		.amdhsa_exception_fp_denorm_src 0
		.amdhsa_exception_fp_ieee_div_zero 0
		.amdhsa_exception_fp_ieee_overflow 0
		.amdhsa_exception_fp_ieee_underflow 0
		.amdhsa_exception_fp_ieee_inexact 0
		.amdhsa_exception_int_div_zero 0
	.end_amdhsa_kernel
	.section	.text._ZN9rocsolver6v33100L16mfma_gemm_kernelIdldPdS2_PKS2_EEv18rocblas_operation_S5_T0_S6_S6_T1_T2_lS6_S6_lT3_lS6_S6_lS7_T4_lS6_S6_l,"axG",@progbits,_ZN9rocsolver6v33100L16mfma_gemm_kernelIdldPdS2_PKS2_EEv18rocblas_operation_S5_T0_S6_S6_T1_T2_lS6_S6_lT3_lS6_S6_lS7_T4_lS6_S6_l,comdat
.Lfunc_end63:
	.size	_ZN9rocsolver6v33100L16mfma_gemm_kernelIdldPdS2_PKS2_EEv18rocblas_operation_S5_T0_S6_S6_T1_T2_lS6_S6_lT3_lS6_S6_lS7_T4_lS6_S6_l, .Lfunc_end63-_ZN9rocsolver6v33100L16mfma_gemm_kernelIdldPdS2_PKS2_EEv18rocblas_operation_S5_T0_S6_S6_T1_T2_lS6_S6_lT3_lS6_S6_lS7_T4_lS6_S6_l
                                        ; -- End function
	.set _ZN9rocsolver6v33100L16mfma_gemm_kernelIdldPdS2_PKS2_EEv18rocblas_operation_S5_T0_S6_S6_T1_T2_lS6_S6_lT3_lS6_S6_lS7_T4_lS6_S6_l.num_vgpr, 0
	.set _ZN9rocsolver6v33100L16mfma_gemm_kernelIdldPdS2_PKS2_EEv18rocblas_operation_S5_T0_S6_S6_T1_T2_lS6_S6_lT3_lS6_S6_lS7_T4_lS6_S6_l.num_agpr, 0
	.set _ZN9rocsolver6v33100L16mfma_gemm_kernelIdldPdS2_PKS2_EEv18rocblas_operation_S5_T0_S6_S6_T1_T2_lS6_S6_lT3_lS6_S6_lS7_T4_lS6_S6_l.numbered_sgpr, 0
	.set _ZN9rocsolver6v33100L16mfma_gemm_kernelIdldPdS2_PKS2_EEv18rocblas_operation_S5_T0_S6_S6_T1_T2_lS6_S6_lT3_lS6_S6_lS7_T4_lS6_S6_l.num_named_barrier, 0
	.set _ZN9rocsolver6v33100L16mfma_gemm_kernelIdldPdS2_PKS2_EEv18rocblas_operation_S5_T0_S6_S6_T1_T2_lS6_S6_lT3_lS6_S6_lS7_T4_lS6_S6_l.private_seg_size, 0
	.set _ZN9rocsolver6v33100L16mfma_gemm_kernelIdldPdS2_PKS2_EEv18rocblas_operation_S5_T0_S6_S6_T1_T2_lS6_S6_lT3_lS6_S6_lS7_T4_lS6_S6_l.uses_vcc, 0
	.set _ZN9rocsolver6v33100L16mfma_gemm_kernelIdldPdS2_PKS2_EEv18rocblas_operation_S5_T0_S6_S6_T1_T2_lS6_S6_lT3_lS6_S6_lS7_T4_lS6_S6_l.uses_flat_scratch, 0
	.set _ZN9rocsolver6v33100L16mfma_gemm_kernelIdldPdS2_PKS2_EEv18rocblas_operation_S5_T0_S6_S6_T1_T2_lS6_S6_lT3_lS6_S6_lS7_T4_lS6_S6_l.has_dyn_sized_stack, 0
	.set _ZN9rocsolver6v33100L16mfma_gemm_kernelIdldPdS2_PKS2_EEv18rocblas_operation_S5_T0_S6_S6_T1_T2_lS6_S6_lT3_lS6_S6_lS7_T4_lS6_S6_l.has_recursion, 0
	.set _ZN9rocsolver6v33100L16mfma_gemm_kernelIdldPdS2_PKS2_EEv18rocblas_operation_S5_T0_S6_S6_T1_T2_lS6_S6_lT3_lS6_S6_lS7_T4_lS6_S6_l.has_indirect_call, 0
	.section	.AMDGPU.csdata,"",@progbits
; Kernel info:
; codeLenInByte = 4
; TotalNumSgprs: 0
; NumVgprs: 0
; ScratchSize: 0
; MemoryBound: 0
; FloatMode: 240
; IeeeMode: 1
; LDSByteSize: 0 bytes/workgroup (compile time only)
; SGPRBlocks: 0
; VGPRBlocks: 0
; NumSGPRsForWavesPerEU: 1
; NumVGPRsForWavesPerEU: 1
; NamedBarCnt: 0
; Occupancy: 16
; WaveLimiterHint : 0
; COMPUTE_PGM_RSRC2:SCRATCH_EN: 0
; COMPUTE_PGM_RSRC2:USER_SGPR: 2
; COMPUTE_PGM_RSRC2:TRAP_HANDLER: 0
; COMPUTE_PGM_RSRC2:TGID_X_EN: 1
; COMPUTE_PGM_RSRC2:TGID_Y_EN: 0
; COMPUTE_PGM_RSRC2:TGID_Z_EN: 0
; COMPUTE_PGM_RSRC2:TIDIG_COMP_CNT: 0
	.section	.text._ZN9rocsolver6v33100L11gemm_kernelIdlPKdPdS4_PKS4_EEvT0_S7_S7_T1_bT2_lS7_S7_lbT3_lS7_S7_lS8_T4_lS7_S7_l,"axG",@progbits,_ZN9rocsolver6v33100L11gemm_kernelIdlPKdPdS4_PKS4_EEvT0_S7_S7_T1_bT2_lS7_S7_lbT3_lS7_S7_lS8_T4_lS7_S7_l,comdat
	.globl	_ZN9rocsolver6v33100L11gemm_kernelIdlPKdPdS4_PKS4_EEvT0_S7_S7_T1_bT2_lS7_S7_lbT3_lS7_S7_lS8_T4_lS7_S7_l ; -- Begin function _ZN9rocsolver6v33100L11gemm_kernelIdlPKdPdS4_PKS4_EEvT0_S7_S7_T1_bT2_lS7_S7_lbT3_lS7_S7_lS8_T4_lS7_S7_l
	.p2align	8
	.type	_ZN9rocsolver6v33100L11gemm_kernelIdlPKdPdS4_PKS4_EEvT0_S7_S7_T1_bT2_lS7_S7_lbT3_lS7_S7_lS8_T4_lS7_S7_l,@function
_ZN9rocsolver6v33100L11gemm_kernelIdlPKdPdS4_PKS4_EEvT0_S7_S7_T1_bT2_lS7_S7_lbT3_lS7_S7_lS8_T4_lS7_S7_l: ; @_ZN9rocsolver6v33100L11gemm_kernelIdlPKdPdS4_PKS4_EEvT0_S7_S7_T1_bT2_lS7_S7_lbT3_lS7_S7_lS8_T4_lS7_S7_l
; %bb.0:
	s_load_b32 s2, s[0:1], 0xbc
	s_bfe_u32 s4, ttmp6, 0x40010
	s_bfe_u32 s7, ttmp6, 0x4000c
	s_and_b32 s3, ttmp7, 0xffff
	s_add_co_i32 s4, s4, 1
	s_add_co_i32 s7, s7, 1
	s_bfe_u32 s5, ttmp6, 0x40004
	s_and_b32 s6, ttmp6, 15
	s_mul_i32 s4, s3, s4
	s_mul_i32 s7, ttmp9, s7
	s_getreg_b32 s24, hwreg(HW_REG_IB_STS2, 6, 4)
	v_mov_b32_e32 v5, 0
	v_and_b32_e32 v4, 0x3ff, v0
	s_add_co_i32 s5, s5, s4
	s_add_co_i32 s6, s6, s7
	s_load_b256 s[16:23], s[0:1], 0x0
	s_wait_kmcnt 0x0
	s_lshr_b32 s4, s2, 16
	s_and_b32 s2, s2, 0xffff
	s_cmp_eq_u32 s24, 0
	s_cselect_b32 s6, ttmp9, s6
	s_delay_alu instid0(SALU_CYCLE_1) | instskip(SKIP_3) | instid1(VALU_DEP_1)
	v_mad_nc_u64_u32 v[2:3], s2, s6, v[4:5]
	v_bfe_u32 v4, v0, 10, 10
	s_cselect_b32 s2, s3, s5
	s_mov_b32 s3, 0
	v_mad_nc_u64_u32 v[0:1], s4, s2, v[4:5]
	s_delay_alu instid0(VALU_DEP_3) | instskip(NEXT) | instid1(VALU_DEP_2)
	v_cmp_gt_i64_e32 vcc_lo, s[16:17], v[2:3]
	v_cmp_gt_i64_e64 s2, s[18:19], v[0:1]
	s_and_b32 s2, vcc_lo, s2
	s_delay_alu instid0(SALU_CYCLE_1)
	s_and_saveexec_b32 s4, s2
	s_cbranch_execz .LBB64_6
; %bb.1:
	s_load_b512 s[4:19], s[0:1], 0x58
	s_bfe_u32 s2, ttmp6, 0x40014
	s_lshr_b32 s25, ttmp7, 16
	s_add_co_i32 s2, s2, 1
	v_cmp_lt_i64_e64 s26, s[20:21], 1
	s_mul_i32 s2, s25, s2
	s_bfe_u32 s27, ttmp6, 0x40008
	s_delay_alu instid0(SALU_CYCLE_1)
	s_add_co_i32 s27, s27, s2
	s_cmp_eq_u32 s24, 0
	s_cselect_b32 s2, s25, s27
	s_and_b32 vcc_lo, exec_lo, s26
	s_cbranch_vccnz .LBB64_4
; %bb.2:
	s_load_b256 s[24:31], s[0:1], 0x28
	s_wait_kmcnt 0x0
	v_mul_u64_e32 v[8:9], s[10:11], v[0:1]
	s_load_b64 s[10:11], s[0:1], 0x48
	s_mul_u64 s[12:13], s[12:13], s[2:3]
	s_lshl_b64 s[6:7], s[6:7], 3
	s_lshl_b64 s[12:13], s[12:13], 3
	v_mov_b64_e32 v[4:5], 0
	s_add_nc_u64 s[4:5], s[4:5], s[12:13]
	s_delay_alu instid0(SALU_CYCLE_1)
	s_add_nc_u64 s[4:5], s[4:5], s[6:7]
	v_mul_u64_e32 v[6:7], s[28:29], v[2:3]
	s_lshl_b64 s[26:27], s[26:27], 3
	s_wait_kmcnt 0x0
	s_mul_u64 s[10:11], s[10:11], s[2:3]
	s_lshl_b64 s[6:7], s[30:31], 3
	s_lshl_b64 s[10:11], s[10:11], 3
	s_delay_alu instid0(SALU_CYCLE_1) | instskip(NEXT) | instid1(SALU_CYCLE_1)
	s_add_nc_u64 s[10:11], s[24:25], s[10:11]
	s_add_nc_u64 s[10:11], s[10:11], s[26:27]
	s_delay_alu instid0(VALU_DEP_3) | instskip(SKIP_1) | instid1(VALU_DEP_2)
	v_lshl_add_u64 v[8:9], v[8:9], 3, s[4:5]
	s_lshl_b64 s[4:5], s[8:9], 3
	v_lshl_add_u64 v[6:7], v[6:7], 3, s[10:11]
.LBB64_3:                               ; =>This Inner Loop Header: Depth=1
	global_load_b64 v[10:11], v[6:7], off
	global_load_b64 v[12:13], v[8:9], off
	s_wait_xcnt 0x0
	v_add_nc_u64_e32 v[8:9], s[4:5], v[8:9]
	v_add_nc_u64_e32 v[6:7], s[6:7], v[6:7]
	s_add_nc_u64 s[20:21], s[20:21], -1
	s_delay_alu instid0(SALU_CYCLE_1)
	s_cmp_eq_u64 s[20:21], 0
	s_wait_loadcnt 0x0
	v_fmac_f64_e32 v[4:5], v[10:11], v[12:13]
	s_cbranch_scc0 .LBB64_3
	s_branch .LBB64_5
.LBB64_4:
	v_mov_b64_e32 v[4:5], 0
.LBB64_5:
	s_wait_kmcnt 0x0
	s_load_b64 s[4:5], s[22:23], 0x0
	s_load_b64 s[6:7], s[14:15], 0x0
	s_load_b64 s[8:9], s[16:17], s2 offset:0x0 scale_offset
                                        ; kill: killed $sgpr2
                                        ; kill: killed $sgpr14_sgpr15 killed $sgpr16_sgpr17
                                        ; kill: killed $sgpr22_sgpr23
	s_wait_xcnt 0x0
	s_load_b128 s[12:15], s[0:1], 0x98
	s_wait_xcnt 0x0
	s_lshl_b64 s[0:1], s[18:19], 3
	s_wait_kmcnt 0x0
	s_add_nc_u64 s[0:1], s[8:9], s[0:1]
	v_mul_u64_e32 v[2:3], s[12:13], v[2:3]
	v_mul_u64_e32 v[0:1], s[14:15], v[0:1]
	s_delay_alu instid0(VALU_DEP_2) | instskip(NEXT) | instid1(VALU_DEP_1)
	v_lshl_add_u64 v[2:3], v[2:3], 3, s[0:1]
	v_lshl_add_u64 v[0:1], v[0:1], 3, v[2:3]
	flat_load_b64 v[2:3], v[0:1]
	s_wait_loadcnt_dscnt 0x0
	v_mul_f64_e32 v[2:3], s[6:7], v[2:3]
	s_delay_alu instid0(VALU_DEP_1)
	v_fmac_f64_e32 v[2:3], s[4:5], v[4:5]
	flat_store_b64 v[0:1], v[2:3]
.LBB64_6:
	s_endpgm
	.section	.rodata,"a",@progbits
	.p2align	6, 0x0
	.amdhsa_kernel _ZN9rocsolver6v33100L11gemm_kernelIdlPKdPdS4_PKS4_EEvT0_S7_S7_T1_bT2_lS7_S7_lbT3_lS7_S7_lS8_T4_lS7_S7_l
		.amdhsa_group_segment_fixed_size 0
		.amdhsa_private_segment_fixed_size 0
		.amdhsa_kernarg_size 432
		.amdhsa_user_sgpr_count 2
		.amdhsa_user_sgpr_dispatch_ptr 0
		.amdhsa_user_sgpr_queue_ptr 0
		.amdhsa_user_sgpr_kernarg_segment_ptr 1
		.amdhsa_user_sgpr_dispatch_id 0
		.amdhsa_user_sgpr_kernarg_preload_length 0
		.amdhsa_user_sgpr_kernarg_preload_offset 0
		.amdhsa_user_sgpr_private_segment_size 0
		.amdhsa_wavefront_size32 1
		.amdhsa_uses_dynamic_stack 0
		.amdhsa_enable_private_segment 0
		.amdhsa_system_sgpr_workgroup_id_x 1
		.amdhsa_system_sgpr_workgroup_id_y 1
		.amdhsa_system_sgpr_workgroup_id_z 1
		.amdhsa_system_sgpr_workgroup_info 0
		.amdhsa_system_vgpr_workitem_id 1
		.amdhsa_next_free_vgpr 14
		.amdhsa_next_free_sgpr 32
		.amdhsa_named_barrier_count 0
		.amdhsa_reserve_vcc 1
		.amdhsa_float_round_mode_32 0
		.amdhsa_float_round_mode_16_64 0
		.amdhsa_float_denorm_mode_32 3
		.amdhsa_float_denorm_mode_16_64 3
		.amdhsa_fp16_overflow 0
		.amdhsa_memory_ordered 1
		.amdhsa_forward_progress 1
		.amdhsa_inst_pref_size 5
		.amdhsa_round_robin_scheduling 0
		.amdhsa_exception_fp_ieee_invalid_op 0
		.amdhsa_exception_fp_denorm_src 0
		.amdhsa_exception_fp_ieee_div_zero 0
		.amdhsa_exception_fp_ieee_overflow 0
		.amdhsa_exception_fp_ieee_underflow 0
		.amdhsa_exception_fp_ieee_inexact 0
		.amdhsa_exception_int_div_zero 0
	.end_amdhsa_kernel
	.section	.text._ZN9rocsolver6v33100L11gemm_kernelIdlPKdPdS4_PKS4_EEvT0_S7_S7_T1_bT2_lS7_S7_lbT3_lS7_S7_lS8_T4_lS7_S7_l,"axG",@progbits,_ZN9rocsolver6v33100L11gemm_kernelIdlPKdPdS4_PKS4_EEvT0_S7_S7_T1_bT2_lS7_S7_lbT3_lS7_S7_lS8_T4_lS7_S7_l,comdat
.Lfunc_end64:
	.size	_ZN9rocsolver6v33100L11gemm_kernelIdlPKdPdS4_PKS4_EEvT0_S7_S7_T1_bT2_lS7_S7_lbT3_lS7_S7_lS8_T4_lS7_S7_l, .Lfunc_end64-_ZN9rocsolver6v33100L11gemm_kernelIdlPKdPdS4_PKS4_EEvT0_S7_S7_T1_bT2_lS7_S7_lbT3_lS7_S7_lS8_T4_lS7_S7_l
                                        ; -- End function
	.set _ZN9rocsolver6v33100L11gemm_kernelIdlPKdPdS4_PKS4_EEvT0_S7_S7_T1_bT2_lS7_S7_lbT3_lS7_S7_lS8_T4_lS7_S7_l.num_vgpr, 14
	.set _ZN9rocsolver6v33100L11gemm_kernelIdlPKdPdS4_PKS4_EEvT0_S7_S7_T1_bT2_lS7_S7_lbT3_lS7_S7_lS8_T4_lS7_S7_l.num_agpr, 0
	.set _ZN9rocsolver6v33100L11gemm_kernelIdlPKdPdS4_PKS4_EEvT0_S7_S7_T1_bT2_lS7_S7_lbT3_lS7_S7_lS8_T4_lS7_S7_l.numbered_sgpr, 32
	.set _ZN9rocsolver6v33100L11gemm_kernelIdlPKdPdS4_PKS4_EEvT0_S7_S7_T1_bT2_lS7_S7_lbT3_lS7_S7_lS8_T4_lS7_S7_l.num_named_barrier, 0
	.set _ZN9rocsolver6v33100L11gemm_kernelIdlPKdPdS4_PKS4_EEvT0_S7_S7_T1_bT2_lS7_S7_lbT3_lS7_S7_lS8_T4_lS7_S7_l.private_seg_size, 0
	.set _ZN9rocsolver6v33100L11gemm_kernelIdlPKdPdS4_PKS4_EEvT0_S7_S7_T1_bT2_lS7_S7_lbT3_lS7_S7_lS8_T4_lS7_S7_l.uses_vcc, 1
	.set _ZN9rocsolver6v33100L11gemm_kernelIdlPKdPdS4_PKS4_EEvT0_S7_S7_T1_bT2_lS7_S7_lbT3_lS7_S7_lS8_T4_lS7_S7_l.uses_flat_scratch, 0
	.set _ZN9rocsolver6v33100L11gemm_kernelIdlPKdPdS4_PKS4_EEvT0_S7_S7_T1_bT2_lS7_S7_lbT3_lS7_S7_lS8_T4_lS7_S7_l.has_dyn_sized_stack, 0
	.set _ZN9rocsolver6v33100L11gemm_kernelIdlPKdPdS4_PKS4_EEvT0_S7_S7_T1_bT2_lS7_S7_lbT3_lS7_S7_lS8_T4_lS7_S7_l.has_recursion, 0
	.set _ZN9rocsolver6v33100L11gemm_kernelIdlPKdPdS4_PKS4_EEvT0_S7_S7_T1_bT2_lS7_S7_lbT3_lS7_S7_lS8_T4_lS7_S7_l.has_indirect_call, 0
	.section	.AMDGPU.csdata,"",@progbits
; Kernel info:
; codeLenInByte = 560
; TotalNumSgprs: 34
; NumVgprs: 14
; ScratchSize: 0
; MemoryBound: 0
; FloatMode: 240
; IeeeMode: 1
; LDSByteSize: 0 bytes/workgroup (compile time only)
; SGPRBlocks: 0
; VGPRBlocks: 0
; NumSGPRsForWavesPerEU: 34
; NumVGPRsForWavesPerEU: 14
; NamedBarCnt: 0
; Occupancy: 16
; WaveLimiterHint : 1
; COMPUTE_PGM_RSRC2:SCRATCH_EN: 0
; COMPUTE_PGM_RSRC2:USER_SGPR: 2
; COMPUTE_PGM_RSRC2:TRAP_HANDLER: 0
; COMPUTE_PGM_RSRC2:TGID_X_EN: 1
; COMPUTE_PGM_RSRC2:TGID_Y_EN: 1
; COMPUTE_PGM_RSRC2:TGID_Z_EN: 1
; COMPUTE_PGM_RSRC2:TIDIG_COMP_CNT: 1
	.section	.text._ZN9rocsolver6v33100L11gemm_kernelIdldPdS2_PKS2_EEvT0_S5_S5_T1_bT2_lS5_S5_lbT3_lS5_S5_lS6_T4_lS5_S5_l,"axG",@progbits,_ZN9rocsolver6v33100L11gemm_kernelIdldPdS2_PKS2_EEvT0_S5_S5_T1_bT2_lS5_S5_lbT3_lS5_S5_lS6_T4_lS5_S5_l,comdat
	.globl	_ZN9rocsolver6v33100L11gemm_kernelIdldPdS2_PKS2_EEvT0_S5_S5_T1_bT2_lS5_S5_lbT3_lS5_S5_lS6_T4_lS5_S5_l ; -- Begin function _ZN9rocsolver6v33100L11gemm_kernelIdldPdS2_PKS2_EEvT0_S5_S5_T1_bT2_lS5_S5_lbT3_lS5_S5_lS6_T4_lS5_S5_l
	.p2align	8
	.type	_ZN9rocsolver6v33100L11gemm_kernelIdldPdS2_PKS2_EEvT0_S5_S5_T1_bT2_lS5_S5_lbT3_lS5_S5_lS6_T4_lS5_S5_l,@function
_ZN9rocsolver6v33100L11gemm_kernelIdldPdS2_PKS2_EEvT0_S5_S5_T1_bT2_lS5_S5_lbT3_lS5_S5_lS6_T4_lS5_S5_l: ; @_ZN9rocsolver6v33100L11gemm_kernelIdldPdS2_PKS2_EEvT0_S5_S5_T1_bT2_lS5_S5_lbT3_lS5_S5_lS6_T4_lS5_S5_l
; %bb.0:
	s_load_b32 s2, s[0:1], 0xbc
	s_bfe_u32 s4, ttmp6, 0x40010
	s_bfe_u32 s7, ttmp6, 0x4000c
	s_and_b32 s3, ttmp7, 0xffff
	s_add_co_i32 s4, s4, 1
	s_add_co_i32 s7, s7, 1
	s_bfe_u32 s5, ttmp6, 0x40004
	s_and_b32 s6, ttmp6, 15
	s_mul_i32 s4, s3, s4
	s_mul_i32 s7, ttmp9, s7
	s_getreg_b32 s24, hwreg(HW_REG_IB_STS2, 6, 4)
	v_mov_b32_e32 v5, 0
	v_and_b32_e32 v4, 0x3ff, v0
	s_add_co_i32 s5, s5, s4
	s_add_co_i32 s6, s6, s7
	s_load_b256 s[16:23], s[0:1], 0x0
	s_wait_kmcnt 0x0
	s_lshr_b32 s4, s2, 16
	s_and_b32 s2, s2, 0xffff
	s_cmp_eq_u32 s24, 0
	s_cselect_b32 s6, ttmp9, s6
	s_delay_alu instid0(SALU_CYCLE_1) | instskip(SKIP_3) | instid1(VALU_DEP_1)
	v_mad_nc_u64_u32 v[2:3], s2, s6, v[4:5]
	v_bfe_u32 v4, v0, 10, 10
	s_cselect_b32 s2, s3, s5
	s_mov_b32 s3, 0
	v_mad_nc_u64_u32 v[0:1], s4, s2, v[4:5]
	s_delay_alu instid0(VALU_DEP_3) | instskip(NEXT) | instid1(VALU_DEP_2)
	v_cmp_gt_i64_e32 vcc_lo, s[16:17], v[2:3]
	v_cmp_gt_i64_e64 s2, s[18:19], v[0:1]
	s_and_b32 s2, vcc_lo, s2
	s_delay_alu instid0(SALU_CYCLE_1)
	s_and_saveexec_b32 s4, s2
	s_cbranch_execz .LBB65_6
; %bb.1:
	s_load_b512 s[4:19], s[0:1], 0x58
	s_bfe_u32 s2, ttmp6, 0x40014
	s_lshr_b32 s25, ttmp7, 16
	s_add_co_i32 s2, s2, 1
	v_cmp_lt_i64_e64 s26, s[20:21], 1
	s_mul_i32 s2, s25, s2
	s_bfe_u32 s27, ttmp6, 0x40008
	s_delay_alu instid0(SALU_CYCLE_1)
	s_add_co_i32 s27, s27, s2
	s_cmp_eq_u32 s24, 0
	s_cselect_b32 s2, s25, s27
	s_and_b32 vcc_lo, exec_lo, s26
	s_cbranch_vccnz .LBB65_4
; %bb.2:
	s_load_b256 s[24:31], s[0:1], 0x28
	s_wait_kmcnt 0x0
	v_mul_u64_e32 v[8:9], s[10:11], v[0:1]
	s_load_b64 s[10:11], s[0:1], 0x48
	s_mul_u64 s[12:13], s[12:13], s[2:3]
	s_lshl_b64 s[6:7], s[6:7], 3
	s_lshl_b64 s[12:13], s[12:13], 3
	v_mov_b64_e32 v[4:5], 0
	s_add_nc_u64 s[4:5], s[4:5], s[12:13]
	s_delay_alu instid0(SALU_CYCLE_1)
	s_add_nc_u64 s[4:5], s[4:5], s[6:7]
	v_mul_u64_e32 v[6:7], s[28:29], v[2:3]
	s_lshl_b64 s[26:27], s[26:27], 3
	s_wait_kmcnt 0x0
	s_mul_u64 s[10:11], s[10:11], s[2:3]
	s_lshl_b64 s[6:7], s[30:31], 3
	s_lshl_b64 s[10:11], s[10:11], 3
	s_delay_alu instid0(SALU_CYCLE_1) | instskip(NEXT) | instid1(SALU_CYCLE_1)
	s_add_nc_u64 s[10:11], s[24:25], s[10:11]
	s_add_nc_u64 s[10:11], s[10:11], s[26:27]
	s_delay_alu instid0(VALU_DEP_3) | instskip(SKIP_1) | instid1(VALU_DEP_2)
	v_lshl_add_u64 v[8:9], v[8:9], 3, s[4:5]
	s_lshl_b64 s[4:5], s[8:9], 3
	v_lshl_add_u64 v[6:7], v[6:7], 3, s[10:11]
.LBB65_3:                               ; =>This Inner Loop Header: Depth=1
	global_load_b64 v[10:11], v[6:7], off
	global_load_b64 v[12:13], v[8:9], off
	s_wait_xcnt 0x0
	v_add_nc_u64_e32 v[8:9], s[4:5], v[8:9]
	v_add_nc_u64_e32 v[6:7], s[6:7], v[6:7]
	s_add_nc_u64 s[20:21], s[20:21], -1
	s_delay_alu instid0(SALU_CYCLE_1)
	s_cmp_eq_u64 s[20:21], 0
	s_wait_loadcnt 0x0
	v_fmac_f64_e32 v[4:5], v[10:11], v[12:13]
	s_cbranch_scc0 .LBB65_3
	s_branch .LBB65_5
.LBB65_4:
	v_mov_b64_e32 v[4:5], 0
.LBB65_5:
	s_wait_kmcnt 0x0
	s_load_b64 s[2:3], s[16:17], s2 offset:0x0 scale_offset
	s_nop 0
	s_load_b128 s[4:7], s[0:1], 0x98
	s_wait_xcnt 0x0
	s_lshl_b64 s[0:1], s[18:19], 3
	s_wait_kmcnt 0x0
	s_add_nc_u64 s[0:1], s[2:3], s[0:1]
	v_mul_u64_e32 v[2:3], s[4:5], v[2:3]
	v_mul_u64_e32 v[0:1], s[6:7], v[0:1]
	s_delay_alu instid0(VALU_DEP_2) | instskip(NEXT) | instid1(VALU_DEP_1)
	v_lshl_add_u64 v[2:3], v[2:3], 3, s[0:1]
	v_lshl_add_u64 v[0:1], v[0:1], 3, v[2:3]
	flat_load_b64 v[2:3], v[0:1]
	s_wait_loadcnt_dscnt 0x0
	v_mul_f64_e32 v[2:3], s[14:15], v[2:3]
	s_delay_alu instid0(VALU_DEP_1)
	v_fmac_f64_e32 v[2:3], s[22:23], v[4:5]
	flat_store_b64 v[0:1], v[2:3]
.LBB65_6:
	s_endpgm
	.section	.rodata,"a",@progbits
	.p2align	6, 0x0
	.amdhsa_kernel _ZN9rocsolver6v33100L11gemm_kernelIdldPdS2_PKS2_EEvT0_S5_S5_T1_bT2_lS5_S5_lbT3_lS5_S5_lS6_T4_lS5_S5_l
		.amdhsa_group_segment_fixed_size 0
		.amdhsa_private_segment_fixed_size 0
		.amdhsa_kernarg_size 432
		.amdhsa_user_sgpr_count 2
		.amdhsa_user_sgpr_dispatch_ptr 0
		.amdhsa_user_sgpr_queue_ptr 0
		.amdhsa_user_sgpr_kernarg_segment_ptr 1
		.amdhsa_user_sgpr_dispatch_id 0
		.amdhsa_user_sgpr_kernarg_preload_length 0
		.amdhsa_user_sgpr_kernarg_preload_offset 0
		.amdhsa_user_sgpr_private_segment_size 0
		.amdhsa_wavefront_size32 1
		.amdhsa_uses_dynamic_stack 0
		.amdhsa_enable_private_segment 0
		.amdhsa_system_sgpr_workgroup_id_x 1
		.amdhsa_system_sgpr_workgroup_id_y 1
		.amdhsa_system_sgpr_workgroup_id_z 1
		.amdhsa_system_sgpr_workgroup_info 0
		.amdhsa_system_vgpr_workitem_id 1
		.amdhsa_next_free_vgpr 14
		.amdhsa_next_free_sgpr 32
		.amdhsa_named_barrier_count 0
		.amdhsa_reserve_vcc 1
		.amdhsa_float_round_mode_32 0
		.amdhsa_float_round_mode_16_64 0
		.amdhsa_float_denorm_mode_32 3
		.amdhsa_float_denorm_mode_16_64 3
		.amdhsa_fp16_overflow 0
		.amdhsa_memory_ordered 1
		.amdhsa_forward_progress 1
		.amdhsa_inst_pref_size 5
		.amdhsa_round_robin_scheduling 0
		.amdhsa_exception_fp_ieee_invalid_op 0
		.amdhsa_exception_fp_denorm_src 0
		.amdhsa_exception_fp_ieee_div_zero 0
		.amdhsa_exception_fp_ieee_overflow 0
		.amdhsa_exception_fp_ieee_underflow 0
		.amdhsa_exception_fp_ieee_inexact 0
		.amdhsa_exception_int_div_zero 0
	.end_amdhsa_kernel
	.section	.text._ZN9rocsolver6v33100L11gemm_kernelIdldPdS2_PKS2_EEvT0_S5_S5_T1_bT2_lS5_S5_lbT3_lS5_S5_lS6_T4_lS5_S5_l,"axG",@progbits,_ZN9rocsolver6v33100L11gemm_kernelIdldPdS2_PKS2_EEvT0_S5_S5_T1_bT2_lS5_S5_lbT3_lS5_S5_lS6_T4_lS5_S5_l,comdat
.Lfunc_end65:
	.size	_ZN9rocsolver6v33100L11gemm_kernelIdldPdS2_PKS2_EEvT0_S5_S5_T1_bT2_lS5_S5_lbT3_lS5_S5_lS6_T4_lS5_S5_l, .Lfunc_end65-_ZN9rocsolver6v33100L11gemm_kernelIdldPdS2_PKS2_EEvT0_S5_S5_T1_bT2_lS5_S5_lbT3_lS5_S5_lS6_T4_lS5_S5_l
                                        ; -- End function
	.set _ZN9rocsolver6v33100L11gemm_kernelIdldPdS2_PKS2_EEvT0_S5_S5_T1_bT2_lS5_S5_lbT3_lS5_S5_lS6_T4_lS5_S5_l.num_vgpr, 14
	.set _ZN9rocsolver6v33100L11gemm_kernelIdldPdS2_PKS2_EEvT0_S5_S5_T1_bT2_lS5_S5_lbT3_lS5_S5_lS6_T4_lS5_S5_l.num_agpr, 0
	.set _ZN9rocsolver6v33100L11gemm_kernelIdldPdS2_PKS2_EEvT0_S5_S5_T1_bT2_lS5_S5_lbT3_lS5_S5_lS6_T4_lS5_S5_l.numbered_sgpr, 32
	.set _ZN9rocsolver6v33100L11gemm_kernelIdldPdS2_PKS2_EEvT0_S5_S5_T1_bT2_lS5_S5_lbT3_lS5_S5_lS6_T4_lS5_S5_l.num_named_barrier, 0
	.set _ZN9rocsolver6v33100L11gemm_kernelIdldPdS2_PKS2_EEvT0_S5_S5_T1_bT2_lS5_S5_lbT3_lS5_S5_lS6_T4_lS5_S5_l.private_seg_size, 0
	.set _ZN9rocsolver6v33100L11gemm_kernelIdldPdS2_PKS2_EEvT0_S5_S5_T1_bT2_lS5_S5_lbT3_lS5_S5_lS6_T4_lS5_S5_l.uses_vcc, 1
	.set _ZN9rocsolver6v33100L11gemm_kernelIdldPdS2_PKS2_EEvT0_S5_S5_T1_bT2_lS5_S5_lbT3_lS5_S5_lS6_T4_lS5_S5_l.uses_flat_scratch, 0
	.set _ZN9rocsolver6v33100L11gemm_kernelIdldPdS2_PKS2_EEvT0_S5_S5_T1_bT2_lS5_S5_lbT3_lS5_S5_lS6_T4_lS5_S5_l.has_dyn_sized_stack, 0
	.set _ZN9rocsolver6v33100L11gemm_kernelIdldPdS2_PKS2_EEvT0_S5_S5_T1_bT2_lS5_S5_lbT3_lS5_S5_lS6_T4_lS5_S5_l.has_recursion, 0
	.set _ZN9rocsolver6v33100L11gemm_kernelIdldPdS2_PKS2_EEvT0_S5_S5_T1_bT2_lS5_S5_lbT3_lS5_S5_lS6_T4_lS5_S5_l.has_indirect_call, 0
	.section	.AMDGPU.csdata,"",@progbits
; Kernel info:
; codeLenInByte = 544
; TotalNumSgprs: 34
; NumVgprs: 14
; ScratchSize: 0
; MemoryBound: 0
; FloatMode: 240
; IeeeMode: 1
; LDSByteSize: 0 bytes/workgroup (compile time only)
; SGPRBlocks: 0
; VGPRBlocks: 0
; NumSGPRsForWavesPerEU: 34
; NumVGPRsForWavesPerEU: 14
; NamedBarCnt: 0
; Occupancy: 16
; WaveLimiterHint : 1
; COMPUTE_PGM_RSRC2:SCRATCH_EN: 0
; COMPUTE_PGM_RSRC2:USER_SGPR: 2
; COMPUTE_PGM_RSRC2:TRAP_HANDLER: 0
; COMPUTE_PGM_RSRC2:TGID_X_EN: 1
; COMPUTE_PGM_RSRC2:TGID_Y_EN: 1
; COMPUTE_PGM_RSRC2:TGID_Z_EN: 1
; COMPUTE_PGM_RSRC2:TIDIG_COMP_CNT: 1
	.section	.AMDGPU.gpr_maximums,"",@progbits
	.set amdgpu.max_num_vgpr, 0
	.set amdgpu.max_num_agpr, 0
	.set amdgpu.max_num_sgpr, 0
	.section	.AMDGPU.csdata,"",@progbits
	.type	__hip_cuid_44dab5d55ab86e38,@object ; @__hip_cuid_44dab5d55ab86e38
	.section	.bss,"aw",@nobits
	.globl	__hip_cuid_44dab5d55ab86e38
__hip_cuid_44dab5d55ab86e38:
	.byte	0                               ; 0x0
	.size	__hip_cuid_44dab5d55ab86e38, 1

	.ident	"AMD clang version 22.0.0git (https://github.com/RadeonOpenCompute/llvm-project roc-7.2.4 26084 f58b06dce1f9c15707c5f808fd002e18c2accf7e)"
	.section	".note.GNU-stack","",@progbits
	.addrsig
	.addrsig_sym __hip_cuid_44dab5d55ab86e38
	.amdgpu_metadata
---
amdhsa.kernels:
  - .args:
      - .offset:         0
        .size:           4
        .value_kind:     by_value
      - .offset:         4
        .size:           4
        .value_kind:     by_value
      - .offset:         8
        .size:           4
        .value_kind:     by_value
      - .offset:         12
        .size:           4
        .value_kind:     by_value
      - .offset:         16
        .size:           4
        .value_kind:     by_value
      - .address_space:  global
        .offset:         24
        .size:           8
        .value_kind:     global_buffer
      - .address_space:  global
        .offset:         32
        .size:           8
        .value_kind:     global_buffer
      - .offset:         40
        .size:           8
        .value_kind:     by_value
      - .offset:         48
        .size:           4
        .value_kind:     by_value
      - .offset:         52
        .size:           4
        .value_kind:     by_value
      - .offset:         56
        .size:           8
        .value_kind:     by_value
      - .address_space:  global
        .offset:         64
        .size:           8
        .value_kind:     global_buffer
      - .offset:         72
        .size:           8
        .value_kind:     by_value
      - .offset:         80
        .size:           4
        .value_kind:     by_value
      - .offset:         84
        .size:           4
        .value_kind:     by_value
      - .offset:         88
        .size:           8
        .value_kind:     by_value
      - .address_space:  global
        .offset:         96
        .size:           8
        .value_kind:     global_buffer
      - .address_space:  global
        .offset:         104
        .size:           8
        .value_kind:     global_buffer
      - .offset:         112
        .size:           8
        .value_kind:     by_value
      - .offset:         120
        .size:           4
        .value_kind:     by_value
      - .offset:         124
        .size:           4
        .value_kind:     by_value
      - .offset:         128
        .size:           8
        .value_kind:     by_value
    .group_segment_fixed_size: 0
    .kernarg_segment_align: 8
    .kernarg_segment_size: 136
    .language:       OpenCL C
    .language_version:
      - 2
      - 0
    .max_flat_workgroup_size: 1024
    .name:           _ZN9rocsolver6v33100L16mfma_gemm_kernelIdiPKdPdS4_S4_EEv18rocblas_operation_S5_T0_S6_S6_T1_T2_lS6_S6_lT3_lS6_S6_lS7_T4_lS6_S6_l
    .private_segment_fixed_size: 0
    .sgpr_count:     0
    .sgpr_spill_count: 0
    .symbol:         _ZN9rocsolver6v33100L16mfma_gemm_kernelIdiPKdPdS4_S4_EEv18rocblas_operation_S5_T0_S6_S6_T1_T2_lS6_S6_lT3_lS6_S6_lS7_T4_lS6_S6_l.kd
    .uniform_work_group_size: 1
    .uses_dynamic_stack: false
    .vgpr_count:     0
    .vgpr_spill_count: 0
    .wavefront_size: 32
  - .args:
      - .offset:         0
        .size:           4
        .value_kind:     by_value
      - .offset:         4
        .size:           4
        .value_kind:     by_value
      - .offset:         8
        .size:           4
        .value_kind:     by_value
      - .offset:         12
        .size:           4
        .value_kind:     by_value
      - .offset:         16
        .size:           4
        .value_kind:     by_value
      - .offset:         24
        .size:           8
        .value_kind:     by_value
      - .address_space:  global
        .offset:         32
        .size:           8
        .value_kind:     global_buffer
      - .offset:         40
        .size:           8
        .value_kind:     by_value
      - .offset:         48
        .size:           4
        .value_kind:     by_value
      - .offset:         52
        .size:           4
        .value_kind:     by_value
      - .offset:         56
        .size:           8
        .value_kind:     by_value
      - .address_space:  global
        .offset:         64
        .size:           8
        .value_kind:     global_buffer
      - .offset:         72
        .size:           8
        .value_kind:     by_value
      - .offset:         80
        .size:           4
        .value_kind:     by_value
      - .offset:         84
        .size:           4
        .value_kind:     by_value
      - .offset:         88
        .size:           8
        .value_kind:     by_value
      - .offset:         96
        .size:           8
        .value_kind:     by_value
      - .address_space:  global
        .offset:         104
        .size:           8
        .value_kind:     global_buffer
      - .offset:         112
        .size:           8
        .value_kind:     by_value
      - .offset:         120
        .size:           4
        .value_kind:     by_value
      - .offset:         124
        .size:           4
        .value_kind:     by_value
      - .offset:         128
        .size:           8
        .value_kind:     by_value
    .group_segment_fixed_size: 0
    .kernarg_segment_align: 8
    .kernarg_segment_size: 136
    .language:       OpenCL C
    .language_version:
      - 2
      - 0
    .max_flat_workgroup_size: 1024
    .name:           _ZN9rocsolver6v33100L16mfma_gemm_kernelIdidPdS2_S2_EEv18rocblas_operation_S3_T0_S4_S4_T1_T2_lS4_S4_lT3_lS4_S4_lS5_T4_lS4_S4_l
    .private_segment_fixed_size: 0
    .sgpr_count:     0
    .sgpr_spill_count: 0
    .symbol:         _ZN9rocsolver6v33100L16mfma_gemm_kernelIdidPdS2_S2_EEv18rocblas_operation_S3_T0_S4_S4_T1_T2_lS4_S4_lT3_lS4_S4_lS5_T4_lS4_S4_l.kd
    .uniform_work_group_size: 1
    .uses_dynamic_stack: false
    .vgpr_count:     0
    .vgpr_spill_count: 0
    .wavefront_size: 32
  - .args:
      - .offset:         0
        .size:           4
        .value_kind:     by_value
      - .offset:         4
        .size:           4
        .value_kind:     by_value
      - .offset:         8
        .size:           4
        .value_kind:     by_value
      - .address_space:  global
        .offset:         16
        .size:           8
        .value_kind:     global_buffer
      - .offset:         24
        .size:           1
        .value_kind:     by_value
      - .address_space:  global
        .offset:         32
        .size:           8
        .value_kind:     global_buffer
      - .offset:         40
        .size:           8
        .value_kind:     by_value
      - .offset:         48
        .size:           4
        .value_kind:     by_value
      - .offset:         52
        .size:           4
        .value_kind:     by_value
      - .offset:         56
        .size:           8
        .value_kind:     by_value
      - .offset:         64
        .size:           1
        .value_kind:     by_value
      - .address_space:  global
        .offset:         72
        .size:           8
        .value_kind:     global_buffer
      - .offset:         80
        .size:           8
        .value_kind:     by_value
      - .offset:         88
        .size:           4
        .value_kind:     by_value
      - .offset:         92
        .size:           4
        .value_kind:     by_value
      - .offset:         96
        .size:           8
        .value_kind:     by_value
      - .address_space:  global
        .offset:         104
        .size:           8
        .value_kind:     global_buffer
      - .address_space:  global
        .offset:         112
        .size:           8
        .value_kind:     global_buffer
      - .offset:         120
        .size:           8
        .value_kind:     by_value
      - .offset:         128
        .size:           4
        .value_kind:     by_value
      - .offset:         132
        .size:           4
        .value_kind:     by_value
      - .offset:         136
        .size:           8
        .value_kind:     by_value
      - .offset:         144
        .size:           4
        .value_kind:     hidden_block_count_x
      - .offset:         148
        .size:           4
        .value_kind:     hidden_block_count_y
      - .offset:         152
        .size:           4
        .value_kind:     hidden_block_count_z
      - .offset:         156
        .size:           2
        .value_kind:     hidden_group_size_x
      - .offset:         158
        .size:           2
        .value_kind:     hidden_group_size_y
      - .offset:         160
        .size:           2
        .value_kind:     hidden_group_size_z
      - .offset:         162
        .size:           2
        .value_kind:     hidden_remainder_x
      - .offset:         164
        .size:           2
        .value_kind:     hidden_remainder_y
      - .offset:         166
        .size:           2
        .value_kind:     hidden_remainder_z
      - .offset:         184
        .size:           8
        .value_kind:     hidden_global_offset_x
      - .offset:         192
        .size:           8
        .value_kind:     hidden_global_offset_y
      - .offset:         200
        .size:           8
        .value_kind:     hidden_global_offset_z
      - .offset:         208
        .size:           2
        .value_kind:     hidden_grid_dims
    .group_segment_fixed_size: 0
    .kernarg_segment_align: 8
    .kernarg_segment_size: 400
    .language:       OpenCL C
    .language_version:
      - 2
      - 0
    .max_flat_workgroup_size: 1024
    .name:           _ZN9rocsolver6v33100L11gemm_kernelIdiPKdPdS4_S4_EEvT0_S5_S5_T1_bT2_lS5_S5_lbT3_lS5_S5_lS6_T4_lS5_S5_l
    .private_segment_fixed_size: 0
    .sgpr_count:     32
    .sgpr_spill_count: 0
    .symbol:         _ZN9rocsolver6v33100L11gemm_kernelIdiPKdPdS4_S4_EEvT0_S5_S5_T1_bT2_lS5_S5_lbT3_lS5_S5_lS6_T4_lS5_S5_l.kd
    .uniform_work_group_size: 1
    .uses_dynamic_stack: false
    .vgpr_count:     12
    .vgpr_spill_count: 0
    .wavefront_size: 32
  - .args:
      - .offset:         0
        .size:           4
        .value_kind:     by_value
      - .offset:         4
        .size:           4
        .value_kind:     by_value
      - .offset:         8
        .size:           4
        .value_kind:     by_value
      - .offset:         16
        .size:           8
        .value_kind:     by_value
      - .offset:         24
        .size:           1
        .value_kind:     by_value
      - .address_space:  global
        .offset:         32
        .size:           8
        .value_kind:     global_buffer
      - .offset:         40
        .size:           8
        .value_kind:     by_value
      - .offset:         48
        .size:           4
        .value_kind:     by_value
      - .offset:         52
        .size:           4
        .value_kind:     by_value
      - .offset:         56
        .size:           8
        .value_kind:     by_value
      - .offset:         64
        .size:           1
        .value_kind:     by_value
      - .address_space:  global
        .offset:         72
        .size:           8
        .value_kind:     global_buffer
      - .offset:         80
        .size:           8
        .value_kind:     by_value
      - .offset:         88
        .size:           4
        .value_kind:     by_value
      - .offset:         92
        .size:           4
        .value_kind:     by_value
      - .offset:         96
        .size:           8
        .value_kind:     by_value
      - .offset:         104
        .size:           8
        .value_kind:     by_value
      - .address_space:  global
        .offset:         112
        .size:           8
        .value_kind:     global_buffer
      - .offset:         120
        .size:           8
        .value_kind:     by_value
      - .offset:         128
        .size:           4
        .value_kind:     by_value
      - .offset:         132
        .size:           4
        .value_kind:     by_value
      - .offset:         136
        .size:           8
        .value_kind:     by_value
      - .offset:         144
        .size:           4
        .value_kind:     hidden_block_count_x
      - .offset:         148
        .size:           4
        .value_kind:     hidden_block_count_y
      - .offset:         152
        .size:           4
        .value_kind:     hidden_block_count_z
      - .offset:         156
        .size:           2
        .value_kind:     hidden_group_size_x
      - .offset:         158
        .size:           2
        .value_kind:     hidden_group_size_y
      - .offset:         160
        .size:           2
        .value_kind:     hidden_group_size_z
      - .offset:         162
        .size:           2
        .value_kind:     hidden_remainder_x
      - .offset:         164
        .size:           2
        .value_kind:     hidden_remainder_y
      - .offset:         166
        .size:           2
        .value_kind:     hidden_remainder_z
      - .offset:         184
        .size:           8
        .value_kind:     hidden_global_offset_x
      - .offset:         192
        .size:           8
        .value_kind:     hidden_global_offset_y
      - .offset:         200
        .size:           8
        .value_kind:     hidden_global_offset_z
      - .offset:         208
        .size:           2
        .value_kind:     hidden_grid_dims
    .group_segment_fixed_size: 0
    .kernarg_segment_align: 8
    .kernarg_segment_size: 400
    .language:       OpenCL C
    .language_version:
      - 2
      - 0
    .max_flat_workgroup_size: 1024
    .name:           _ZN9rocsolver6v33100L11gemm_kernelIdidPdS2_S2_EEvT0_S3_S3_T1_bT2_lS3_S3_lbT3_lS3_S3_lS4_T4_lS3_S3_l
    .private_segment_fixed_size: 0
    .sgpr_count:     29
    .sgpr_spill_count: 0
    .symbol:         _ZN9rocsolver6v33100L11gemm_kernelIdidPdS2_S2_EEvT0_S3_S3_T1_bT2_lS3_S3_lbT3_lS3_S3_lS4_T4_lS3_S3_l.kd
    .uniform_work_group_size: 1
    .uses_dynamic_stack: false
    .vgpr_count:     12
    .vgpr_spill_count: 0
    .wavefront_size: 32
  - .args:
      - .offset:         0
        .size:           4
        .value_kind:     by_value
      - .offset:         4
        .size:           4
        .value_kind:     by_value
      - .offset:         8
        .size:           4
        .value_kind:     by_value
      - .offset:         12
        .size:           4
        .value_kind:     by_value
      - .offset:         16
        .size:           4
        .value_kind:     by_value
      - .address_space:  global
        .offset:         24
        .size:           8
        .value_kind:     global_buffer
      - .address_space:  global
        .offset:         32
        .size:           8
        .value_kind:     global_buffer
      - .offset:         40
        .size:           8
        .value_kind:     by_value
      - .offset:         48
        .size:           4
        .value_kind:     by_value
      - .offset:         52
        .size:           4
        .value_kind:     by_value
      - .offset:         56
        .size:           8
        .value_kind:     by_value
      - .address_space:  global
        .offset:         64
        .size:           8
        .value_kind:     global_buffer
      - .offset:         72
        .size:           8
        .value_kind:     by_value
      - .offset:         80
        .size:           4
        .value_kind:     by_value
      - .offset:         84
        .size:           4
        .value_kind:     by_value
      - .offset:         88
        .size:           8
        .value_kind:     by_value
      - .address_space:  global
        .offset:         96
        .size:           8
        .value_kind:     global_buffer
      - .address_space:  global
        .offset:         104
        .size:           8
        .value_kind:     global_buffer
      - .offset:         112
        .size:           8
        .value_kind:     by_value
      - .offset:         120
        .size:           4
        .value_kind:     by_value
      - .offset:         124
        .size:           4
        .value_kind:     by_value
      - .offset:         128
        .size:           8
        .value_kind:     by_value
    .group_segment_fixed_size: 0
    .kernarg_segment_align: 8
    .kernarg_segment_size: 136
    .language:       OpenCL C
    .language_version:
      - 2
      - 0
    .max_flat_workgroup_size: 1024
    .name:           _ZN9rocsolver6v33100L16mfma_gemm_kernelIdiPKdPKPdS6_S6_EEv18rocblas_operation_S7_T0_S8_S8_T1_T2_lS8_S8_lT3_lS8_S8_lS9_T4_lS8_S8_l
    .private_segment_fixed_size: 0
    .sgpr_count:     0
    .sgpr_spill_count: 0
    .symbol:         _ZN9rocsolver6v33100L16mfma_gemm_kernelIdiPKdPKPdS6_S6_EEv18rocblas_operation_S7_T0_S8_S8_T1_T2_lS8_S8_lT3_lS8_S8_lS9_T4_lS8_S8_l.kd
    .uniform_work_group_size: 1
    .uses_dynamic_stack: false
    .vgpr_count:     0
    .vgpr_spill_count: 0
    .wavefront_size: 32
  - .args:
      - .offset:         0
        .size:           4
        .value_kind:     by_value
      - .offset:         4
        .size:           4
        .value_kind:     by_value
      - .offset:         8
        .size:           4
        .value_kind:     by_value
      - .offset:         12
        .size:           4
        .value_kind:     by_value
      - .offset:         16
        .size:           4
        .value_kind:     by_value
      - .offset:         24
        .size:           8
        .value_kind:     by_value
      - .address_space:  global
        .offset:         32
        .size:           8
        .value_kind:     global_buffer
      - .offset:         40
        .size:           8
        .value_kind:     by_value
      - .offset:         48
        .size:           4
        .value_kind:     by_value
      - .offset:         52
        .size:           4
        .value_kind:     by_value
      - .offset:         56
        .size:           8
        .value_kind:     by_value
      - .address_space:  global
        .offset:         64
        .size:           8
        .value_kind:     global_buffer
      - .offset:         72
        .size:           8
        .value_kind:     by_value
      - .offset:         80
        .size:           4
        .value_kind:     by_value
      - .offset:         84
        .size:           4
        .value_kind:     by_value
      - .offset:         88
        .size:           8
        .value_kind:     by_value
      - .offset:         96
        .size:           8
        .value_kind:     by_value
      - .address_space:  global
        .offset:         104
        .size:           8
        .value_kind:     global_buffer
      - .offset:         112
        .size:           8
        .value_kind:     by_value
      - .offset:         120
        .size:           4
        .value_kind:     by_value
      - .offset:         124
        .size:           4
        .value_kind:     by_value
      - .offset:         128
        .size:           8
        .value_kind:     by_value
    .group_segment_fixed_size: 0
    .kernarg_segment_align: 8
    .kernarg_segment_size: 136
    .language:       OpenCL C
    .language_version:
      - 2
      - 0
    .max_flat_workgroup_size: 1024
    .name:           _ZN9rocsolver6v33100L16mfma_gemm_kernelIdidPKPdS4_S4_EEv18rocblas_operation_S5_T0_S6_S6_T1_T2_lS6_S6_lT3_lS6_S6_lS7_T4_lS6_S6_l
    .private_segment_fixed_size: 0
    .sgpr_count:     0
    .sgpr_spill_count: 0
    .symbol:         _ZN9rocsolver6v33100L16mfma_gemm_kernelIdidPKPdS4_S4_EEv18rocblas_operation_S5_T0_S6_S6_T1_T2_lS6_S6_lT3_lS6_S6_lS7_T4_lS6_S6_l.kd
    .uniform_work_group_size: 1
    .uses_dynamic_stack: false
    .vgpr_count:     0
    .vgpr_spill_count: 0
    .wavefront_size: 32
  - .args:
      - .offset:         0
        .size:           4
        .value_kind:     by_value
      - .offset:         4
        .size:           4
        .value_kind:     by_value
      - .offset:         8
        .size:           4
        .value_kind:     by_value
      - .address_space:  global
        .offset:         16
        .size:           8
        .value_kind:     global_buffer
      - .offset:         24
        .size:           1
        .value_kind:     by_value
      - .address_space:  global
        .offset:         32
        .size:           8
        .value_kind:     global_buffer
      - .offset:         40
        .size:           8
        .value_kind:     by_value
      - .offset:         48
        .size:           4
        .value_kind:     by_value
      - .offset:         52
        .size:           4
        .value_kind:     by_value
      - .offset:         56
        .size:           8
        .value_kind:     by_value
      - .offset:         64
        .size:           1
        .value_kind:     by_value
      - .address_space:  global
        .offset:         72
        .size:           8
        .value_kind:     global_buffer
      - .offset:         80
        .size:           8
        .value_kind:     by_value
      - .offset:         88
        .size:           4
        .value_kind:     by_value
      - .offset:         92
        .size:           4
        .value_kind:     by_value
      - .offset:         96
        .size:           8
        .value_kind:     by_value
      - .address_space:  global
        .offset:         104
        .size:           8
        .value_kind:     global_buffer
      - .address_space:  global
        .offset:         112
        .size:           8
        .value_kind:     global_buffer
      - .offset:         120
        .size:           8
        .value_kind:     by_value
      - .offset:         128
        .size:           4
        .value_kind:     by_value
      - .offset:         132
        .size:           4
        .value_kind:     by_value
      - .offset:         136
        .size:           8
        .value_kind:     by_value
      - .offset:         144
        .size:           4
        .value_kind:     hidden_block_count_x
      - .offset:         148
        .size:           4
        .value_kind:     hidden_block_count_y
      - .offset:         152
        .size:           4
        .value_kind:     hidden_block_count_z
      - .offset:         156
        .size:           2
        .value_kind:     hidden_group_size_x
      - .offset:         158
        .size:           2
        .value_kind:     hidden_group_size_y
      - .offset:         160
        .size:           2
        .value_kind:     hidden_group_size_z
      - .offset:         162
        .size:           2
        .value_kind:     hidden_remainder_x
      - .offset:         164
        .size:           2
        .value_kind:     hidden_remainder_y
      - .offset:         166
        .size:           2
        .value_kind:     hidden_remainder_z
      - .offset:         184
        .size:           8
        .value_kind:     hidden_global_offset_x
      - .offset:         192
        .size:           8
        .value_kind:     hidden_global_offset_y
      - .offset:         200
        .size:           8
        .value_kind:     hidden_global_offset_z
      - .offset:         208
        .size:           2
        .value_kind:     hidden_grid_dims
    .group_segment_fixed_size: 0
    .kernarg_segment_align: 8
    .kernarg_segment_size: 400
    .language:       OpenCL C
    .language_version:
      - 2
      - 0
    .max_flat_workgroup_size: 1024
    .name:           _ZN9rocsolver6v33100L11gemm_kernelIdiPKdPKPdS6_S6_EEvT0_S7_S7_T1_bT2_lS7_S7_lbT3_lS7_S7_lS8_T4_lS7_S7_l
    .private_segment_fixed_size: 0
    .sgpr_count:     32
    .sgpr_spill_count: 0
    .symbol:         _ZN9rocsolver6v33100L11gemm_kernelIdiPKdPKPdS6_S6_EEvT0_S7_S7_T1_bT2_lS7_S7_lbT3_lS7_S7_lS8_T4_lS7_S7_l.kd
    .uniform_work_group_size: 1
    .uses_dynamic_stack: false
    .vgpr_count:     12
    .vgpr_spill_count: 0
    .wavefront_size: 32
  - .args:
      - .offset:         0
        .size:           4
        .value_kind:     by_value
      - .offset:         4
        .size:           4
        .value_kind:     by_value
      - .offset:         8
        .size:           4
        .value_kind:     by_value
      - .offset:         16
        .size:           8
        .value_kind:     by_value
      - .offset:         24
        .size:           1
        .value_kind:     by_value
      - .address_space:  global
        .offset:         32
        .size:           8
        .value_kind:     global_buffer
      - .offset:         40
        .size:           8
        .value_kind:     by_value
      - .offset:         48
        .size:           4
        .value_kind:     by_value
      - .offset:         52
        .size:           4
        .value_kind:     by_value
      - .offset:         56
        .size:           8
        .value_kind:     by_value
      - .offset:         64
        .size:           1
        .value_kind:     by_value
      - .address_space:  global
        .offset:         72
        .size:           8
        .value_kind:     global_buffer
      - .offset:         80
        .size:           8
        .value_kind:     by_value
      - .offset:         88
        .size:           4
        .value_kind:     by_value
      - .offset:         92
        .size:           4
        .value_kind:     by_value
      - .offset:         96
        .size:           8
        .value_kind:     by_value
      - .offset:         104
        .size:           8
        .value_kind:     by_value
      - .address_space:  global
        .offset:         112
        .size:           8
        .value_kind:     global_buffer
      - .offset:         120
        .size:           8
        .value_kind:     by_value
      - .offset:         128
        .size:           4
        .value_kind:     by_value
      - .offset:         132
        .size:           4
        .value_kind:     by_value
      - .offset:         136
        .size:           8
        .value_kind:     by_value
      - .offset:         144
        .size:           4
        .value_kind:     hidden_block_count_x
      - .offset:         148
        .size:           4
        .value_kind:     hidden_block_count_y
      - .offset:         152
        .size:           4
        .value_kind:     hidden_block_count_z
      - .offset:         156
        .size:           2
        .value_kind:     hidden_group_size_x
      - .offset:         158
        .size:           2
        .value_kind:     hidden_group_size_y
      - .offset:         160
        .size:           2
        .value_kind:     hidden_group_size_z
      - .offset:         162
        .size:           2
        .value_kind:     hidden_remainder_x
      - .offset:         164
        .size:           2
        .value_kind:     hidden_remainder_y
      - .offset:         166
        .size:           2
        .value_kind:     hidden_remainder_z
      - .offset:         184
        .size:           8
        .value_kind:     hidden_global_offset_x
      - .offset:         192
        .size:           8
        .value_kind:     hidden_global_offset_y
      - .offset:         200
        .size:           8
        .value_kind:     hidden_global_offset_z
      - .offset:         208
        .size:           2
        .value_kind:     hidden_grid_dims
    .group_segment_fixed_size: 0
    .kernarg_segment_align: 8
    .kernarg_segment_size: 400
    .language:       OpenCL C
    .language_version:
      - 2
      - 0
    .max_flat_workgroup_size: 1024
    .name:           _ZN9rocsolver6v33100L11gemm_kernelIdidPKPdS4_S4_EEvT0_S5_S5_T1_bT2_lS5_S5_lbT3_lS5_S5_lS6_T4_lS5_S5_l
    .private_segment_fixed_size: 0
    .sgpr_count:     28
    .sgpr_spill_count: 0
    .symbol:         _ZN9rocsolver6v33100L11gemm_kernelIdidPKPdS4_S4_EEvT0_S5_S5_T1_bT2_lS5_S5_lbT3_lS5_S5_lS6_T4_lS5_S5_l.kd
    .uniform_work_group_size: 1
    .uses_dynamic_stack: false
    .vgpr_count:     12
    .vgpr_spill_count: 0
    .wavefront_size: 32
  - .args:
      - .address_space:  global
        .offset:         0
        .size:           8
        .value_kind:     global_buffer
      - .address_space:  global
        .offset:         8
        .size:           8
        .value_kind:     global_buffer
      - .offset:         16
        .size:           8
        .value_kind:     by_value
      - .offset:         24
        .size:           4
        .value_kind:     by_value
      - .offset:         32
        .size:           4
        .value_kind:     hidden_block_count_x
      - .offset:         36
        .size:           4
        .value_kind:     hidden_block_count_y
      - .offset:         40
        .size:           4
        .value_kind:     hidden_block_count_z
      - .offset:         44
        .size:           2
        .value_kind:     hidden_group_size_x
      - .offset:         46
        .size:           2
        .value_kind:     hidden_group_size_y
      - .offset:         48
        .size:           2
        .value_kind:     hidden_group_size_z
      - .offset:         50
        .size:           2
        .value_kind:     hidden_remainder_x
      - .offset:         52
        .size:           2
        .value_kind:     hidden_remainder_y
      - .offset:         54
        .size:           2
        .value_kind:     hidden_remainder_z
      - .offset:         72
        .size:           8
        .value_kind:     hidden_global_offset_x
      - .offset:         80
        .size:           8
        .value_kind:     hidden_global_offset_y
      - .offset:         88
        .size:           8
        .value_kind:     hidden_global_offset_z
      - .offset:         96
        .size:           2
        .value_kind:     hidden_grid_dims
    .group_segment_fixed_size: 0
    .kernarg_segment_align: 8
    .kernarg_segment_size: 288
    .language:       OpenCL C
    .language_version:
      - 2
      - 0
    .max_flat_workgroup_size: 1024
    .name:           _ZN9rocsolver6v33100L9get_arrayIdiEEvPPT_S3_lT0_
    .private_segment_fixed_size: 0
    .sgpr_count:     7
    .sgpr_spill_count: 0
    .symbol:         _ZN9rocsolver6v33100L9get_arrayIdiEEvPPT_S3_lT0_.kd
    .uniform_work_group_size: 1
    .uses_dynamic_stack: false
    .vgpr_count:     4
    .vgpr_spill_count: 0
    .wavefront_size: 32
  - .args:
      - .offset:         0
        .size:           4
        .value_kind:     by_value
      - .offset:         4
        .size:           4
        .value_kind:     by_value
      - .offset:         8
        .size:           4
        .value_kind:     by_value
      - .offset:         12
        .size:           4
        .value_kind:     by_value
      - .offset:         16
        .size:           4
        .value_kind:     by_value
      - .address_space:  global
        .offset:         24
        .size:           8
        .value_kind:     global_buffer
      - .address_space:  global
        .offset:         32
        .size:           8
        .value_kind:     global_buffer
      - .offset:         40
        .size:           8
        .value_kind:     by_value
      - .offset:         48
        .size:           4
        .value_kind:     by_value
      - .offset:         52
        .size:           4
        .value_kind:     by_value
      - .offset:         56
        .size:           8
        .value_kind:     by_value
      - .address_space:  global
        .offset:         64
        .size:           8
        .value_kind:     global_buffer
      - .offset:         72
        .size:           8
        .value_kind:     by_value
      - .offset:         80
        .size:           4
        .value_kind:     by_value
      - .offset:         84
        .size:           4
        .value_kind:     by_value
      - .offset:         88
        .size:           8
        .value_kind:     by_value
      - .address_space:  global
        .offset:         96
        .size:           8
        .value_kind:     global_buffer
      - .address_space:  global
        .offset:         104
        .size:           8
        .value_kind:     global_buffer
      - .offset:         112
        .size:           8
        .value_kind:     by_value
      - .offset:         120
        .size:           4
        .value_kind:     by_value
      - .offset:         124
        .size:           4
        .value_kind:     by_value
      - .offset:         128
        .size:           8
        .value_kind:     by_value
    .group_segment_fixed_size: 0
    .kernarg_segment_align: 8
    .kernarg_segment_size: 136
    .language:       OpenCL C
    .language_version:
      - 2
      - 0
    .max_flat_workgroup_size: 1024
    .name:           _ZN9rocsolver6v33100L16mfma_gemm_kernelIdiPKdPdPKS4_S6_EEv18rocblas_operation_S7_T0_S8_S8_T1_T2_lS8_S8_lT3_lS8_S8_lS9_T4_lS8_S8_l
    .private_segment_fixed_size: 0
    .sgpr_count:     0
    .sgpr_spill_count: 0
    .symbol:         _ZN9rocsolver6v33100L16mfma_gemm_kernelIdiPKdPdPKS4_S6_EEv18rocblas_operation_S7_T0_S8_S8_T1_T2_lS8_S8_lT3_lS8_S8_lS9_T4_lS8_S8_l.kd
    .uniform_work_group_size: 1
    .uses_dynamic_stack: false
    .vgpr_count:     0
    .vgpr_spill_count: 0
    .wavefront_size: 32
  - .args:
      - .offset:         0
        .size:           4
        .value_kind:     by_value
      - .offset:         4
        .size:           4
        .value_kind:     by_value
      - .offset:         8
        .size:           4
        .value_kind:     by_value
      - .offset:         12
        .size:           4
        .value_kind:     by_value
      - .offset:         16
        .size:           4
        .value_kind:     by_value
      - .offset:         24
        .size:           8
        .value_kind:     by_value
      - .address_space:  global
        .offset:         32
        .size:           8
        .value_kind:     global_buffer
      - .offset:         40
        .size:           8
        .value_kind:     by_value
      - .offset:         48
        .size:           4
        .value_kind:     by_value
      - .offset:         52
        .size:           4
        .value_kind:     by_value
      - .offset:         56
        .size:           8
        .value_kind:     by_value
      - .address_space:  global
        .offset:         64
        .size:           8
        .value_kind:     global_buffer
      - .offset:         72
        .size:           8
        .value_kind:     by_value
      - .offset:         80
        .size:           4
        .value_kind:     by_value
      - .offset:         84
        .size:           4
        .value_kind:     by_value
      - .offset:         88
        .size:           8
        .value_kind:     by_value
      - .offset:         96
        .size:           8
        .value_kind:     by_value
      - .address_space:  global
        .offset:         104
        .size:           8
        .value_kind:     global_buffer
      - .offset:         112
        .size:           8
        .value_kind:     by_value
      - .offset:         120
        .size:           4
        .value_kind:     by_value
      - .offset:         124
        .size:           4
        .value_kind:     by_value
      - .offset:         128
        .size:           8
        .value_kind:     by_value
    .group_segment_fixed_size: 0
    .kernarg_segment_align: 8
    .kernarg_segment_size: 136
    .language:       OpenCL C
    .language_version:
      - 2
      - 0
    .max_flat_workgroup_size: 1024
    .name:           _ZN9rocsolver6v33100L16mfma_gemm_kernelIdidPdPKS2_S4_EEv18rocblas_operation_S5_T0_S6_S6_T1_T2_lS6_S6_lT3_lS6_S6_lS7_T4_lS6_S6_l
    .private_segment_fixed_size: 0
    .sgpr_count:     0
    .sgpr_spill_count: 0
    .symbol:         _ZN9rocsolver6v33100L16mfma_gemm_kernelIdidPdPKS2_S4_EEv18rocblas_operation_S5_T0_S6_S6_T1_T2_lS6_S6_lT3_lS6_S6_lS7_T4_lS6_S6_l.kd
    .uniform_work_group_size: 1
    .uses_dynamic_stack: false
    .vgpr_count:     0
    .vgpr_spill_count: 0
    .wavefront_size: 32
  - .args:
      - .offset:         0
        .size:           4
        .value_kind:     by_value
      - .offset:         4
        .size:           4
        .value_kind:     by_value
      - .offset:         8
        .size:           4
        .value_kind:     by_value
      - .address_space:  global
        .offset:         16
        .size:           8
        .value_kind:     global_buffer
      - .offset:         24
        .size:           1
        .value_kind:     by_value
      - .address_space:  global
        .offset:         32
        .size:           8
        .value_kind:     global_buffer
      - .offset:         40
        .size:           8
        .value_kind:     by_value
      - .offset:         48
        .size:           4
        .value_kind:     by_value
      - .offset:         52
        .size:           4
        .value_kind:     by_value
      - .offset:         56
        .size:           8
        .value_kind:     by_value
      - .offset:         64
        .size:           1
        .value_kind:     by_value
      - .address_space:  global
        .offset:         72
        .size:           8
        .value_kind:     global_buffer
      - .offset:         80
        .size:           8
        .value_kind:     by_value
      - .offset:         88
        .size:           4
        .value_kind:     by_value
      - .offset:         92
        .size:           4
        .value_kind:     by_value
      - .offset:         96
        .size:           8
        .value_kind:     by_value
      - .address_space:  global
        .offset:         104
        .size:           8
        .value_kind:     global_buffer
      - .address_space:  global
        .offset:         112
        .size:           8
        .value_kind:     global_buffer
      - .offset:         120
        .size:           8
        .value_kind:     by_value
      - .offset:         128
        .size:           4
        .value_kind:     by_value
      - .offset:         132
        .size:           4
        .value_kind:     by_value
      - .offset:         136
        .size:           8
        .value_kind:     by_value
      - .offset:         144
        .size:           4
        .value_kind:     hidden_block_count_x
      - .offset:         148
        .size:           4
        .value_kind:     hidden_block_count_y
      - .offset:         152
        .size:           4
        .value_kind:     hidden_block_count_z
      - .offset:         156
        .size:           2
        .value_kind:     hidden_group_size_x
      - .offset:         158
        .size:           2
        .value_kind:     hidden_group_size_y
      - .offset:         160
        .size:           2
        .value_kind:     hidden_group_size_z
      - .offset:         162
        .size:           2
        .value_kind:     hidden_remainder_x
      - .offset:         164
        .size:           2
        .value_kind:     hidden_remainder_y
      - .offset:         166
        .size:           2
        .value_kind:     hidden_remainder_z
      - .offset:         184
        .size:           8
        .value_kind:     hidden_global_offset_x
      - .offset:         192
        .size:           8
        .value_kind:     hidden_global_offset_y
      - .offset:         200
        .size:           8
        .value_kind:     hidden_global_offset_z
      - .offset:         208
        .size:           2
        .value_kind:     hidden_grid_dims
    .group_segment_fixed_size: 0
    .kernarg_segment_align: 8
    .kernarg_segment_size: 400
    .language:       OpenCL C
    .language_version:
      - 2
      - 0
    .max_flat_workgroup_size: 1024
    .name:           _ZN9rocsolver6v33100L11gemm_kernelIdiPKdPdPKS4_S6_EEvT0_S7_S7_T1_bT2_lS7_S7_lbT3_lS7_S7_lS8_T4_lS7_S7_l
    .private_segment_fixed_size: 0
    .sgpr_count:     30
    .sgpr_spill_count: 0
    .symbol:         _ZN9rocsolver6v33100L11gemm_kernelIdiPKdPdPKS4_S6_EEvT0_S7_S7_T1_bT2_lS7_S7_lbT3_lS7_S7_lS8_T4_lS7_S7_l.kd
    .uniform_work_group_size: 1
    .uses_dynamic_stack: false
    .vgpr_count:     12
    .vgpr_spill_count: 0
    .wavefront_size: 32
  - .args:
      - .offset:         0
        .size:           4
        .value_kind:     by_value
      - .offset:         4
        .size:           4
        .value_kind:     by_value
      - .offset:         8
        .size:           4
        .value_kind:     by_value
      - .offset:         16
        .size:           8
        .value_kind:     by_value
      - .offset:         24
        .size:           1
        .value_kind:     by_value
      - .address_space:  global
        .offset:         32
        .size:           8
        .value_kind:     global_buffer
      - .offset:         40
        .size:           8
        .value_kind:     by_value
      - .offset:         48
        .size:           4
        .value_kind:     by_value
      - .offset:         52
        .size:           4
        .value_kind:     by_value
      - .offset:         56
        .size:           8
        .value_kind:     by_value
      - .offset:         64
        .size:           1
        .value_kind:     by_value
      - .address_space:  global
        .offset:         72
        .size:           8
        .value_kind:     global_buffer
      - .offset:         80
        .size:           8
        .value_kind:     by_value
      - .offset:         88
        .size:           4
        .value_kind:     by_value
      - .offset:         92
        .size:           4
        .value_kind:     by_value
      - .offset:         96
        .size:           8
        .value_kind:     by_value
      - .offset:         104
        .size:           8
        .value_kind:     by_value
      - .address_space:  global
        .offset:         112
        .size:           8
        .value_kind:     global_buffer
      - .offset:         120
        .size:           8
        .value_kind:     by_value
      - .offset:         128
        .size:           4
        .value_kind:     by_value
      - .offset:         132
        .size:           4
        .value_kind:     by_value
      - .offset:         136
        .size:           8
        .value_kind:     by_value
      - .offset:         144
        .size:           4
        .value_kind:     hidden_block_count_x
      - .offset:         148
        .size:           4
        .value_kind:     hidden_block_count_y
      - .offset:         152
        .size:           4
        .value_kind:     hidden_block_count_z
      - .offset:         156
        .size:           2
        .value_kind:     hidden_group_size_x
      - .offset:         158
        .size:           2
        .value_kind:     hidden_group_size_y
      - .offset:         160
        .size:           2
        .value_kind:     hidden_group_size_z
      - .offset:         162
        .size:           2
        .value_kind:     hidden_remainder_x
      - .offset:         164
        .size:           2
        .value_kind:     hidden_remainder_y
      - .offset:         166
        .size:           2
        .value_kind:     hidden_remainder_z
      - .offset:         184
        .size:           8
        .value_kind:     hidden_global_offset_x
      - .offset:         192
        .size:           8
        .value_kind:     hidden_global_offset_y
      - .offset:         200
        .size:           8
        .value_kind:     hidden_global_offset_z
      - .offset:         208
        .size:           2
        .value_kind:     hidden_grid_dims
    .group_segment_fixed_size: 0
    .kernarg_segment_align: 8
    .kernarg_segment_size: 400
    .language:       OpenCL C
    .language_version:
      - 2
      - 0
    .max_flat_workgroup_size: 1024
    .name:           _ZN9rocsolver6v33100L11gemm_kernelIdidPdPKS2_S4_EEvT0_S5_S5_T1_bT2_lS5_S5_lbT3_lS5_S5_lS6_T4_lS5_S5_l
    .private_segment_fixed_size: 0
    .sgpr_count:     28
    .sgpr_spill_count: 0
    .symbol:         _ZN9rocsolver6v33100L11gemm_kernelIdidPdPKS2_S4_EEvT0_S5_S5_T1_bT2_lS5_S5_lbT3_lS5_S5_lS6_T4_lS5_S5_l.kd
    .uniform_work_group_size: 1
    .uses_dynamic_stack: false
    .vgpr_count:     12
    .vgpr_spill_count: 0
    .wavefront_size: 32
  - .args:
      - .offset:         0
        .size:           4
        .value_kind:     by_value
      - .offset:         4
        .size:           4
        .value_kind:     by_value
      - .offset:         8
        .size:           4
        .value_kind:     by_value
      - .offset:         12
        .size:           4
        .value_kind:     by_value
      - .offset:         16
        .size:           4
        .value_kind:     by_value
      - .address_space:  global
        .offset:         24
        .size:           8
        .value_kind:     global_buffer
      - .address_space:  global
        .offset:         32
        .size:           8
        .value_kind:     global_buffer
      - .offset:         40
        .size:           8
        .value_kind:     by_value
      - .offset:         48
        .size:           4
        .value_kind:     by_value
      - .offset:         52
        .size:           4
        .value_kind:     by_value
      - .offset:         56
        .size:           8
        .value_kind:     by_value
      - .address_space:  global
        .offset:         64
        .size:           8
        .value_kind:     global_buffer
      - .offset:         72
        .size:           8
        .value_kind:     by_value
      - .offset:         80
        .size:           4
        .value_kind:     by_value
      - .offset:         84
        .size:           4
        .value_kind:     by_value
      - .offset:         88
        .size:           8
        .value_kind:     by_value
      - .address_space:  global
        .offset:         96
        .size:           8
        .value_kind:     global_buffer
      - .address_space:  global
        .offset:         104
        .size:           8
        .value_kind:     global_buffer
      - .offset:         112
        .size:           8
        .value_kind:     by_value
      - .offset:         120
        .size:           4
        .value_kind:     by_value
      - .offset:         124
        .size:           4
        .value_kind:     by_value
      - .offset:         128
        .size:           8
        .value_kind:     by_value
    .group_segment_fixed_size: 0
    .kernarg_segment_align: 8
    .kernarg_segment_size: 136
    .language:       OpenCL C
    .language_version:
      - 2
      - 0
    .max_flat_workgroup_size: 1024
    .name:           _ZN9rocsolver6v33100L16mfma_gemm_kernelIdiPKdPKPdS4_S6_EEv18rocblas_operation_S7_T0_S8_S8_T1_T2_lS8_S8_lT3_lS8_S8_lS9_T4_lS8_S8_l
    .private_segment_fixed_size: 0
    .sgpr_count:     0
    .sgpr_spill_count: 0
    .symbol:         _ZN9rocsolver6v33100L16mfma_gemm_kernelIdiPKdPKPdS4_S6_EEv18rocblas_operation_S7_T0_S8_S8_T1_T2_lS8_S8_lT3_lS8_S8_lS9_T4_lS8_S8_l.kd
    .uniform_work_group_size: 1
    .uses_dynamic_stack: false
    .vgpr_count:     0
    .vgpr_spill_count: 0
    .wavefront_size: 32
  - .args:
      - .offset:         0
        .size:           4
        .value_kind:     by_value
      - .offset:         4
        .size:           4
        .value_kind:     by_value
      - .offset:         8
        .size:           4
        .value_kind:     by_value
      - .offset:         12
        .size:           4
        .value_kind:     by_value
      - .offset:         16
        .size:           4
        .value_kind:     by_value
      - .offset:         24
        .size:           8
        .value_kind:     by_value
      - .address_space:  global
        .offset:         32
        .size:           8
        .value_kind:     global_buffer
      - .offset:         40
        .size:           8
        .value_kind:     by_value
      - .offset:         48
        .size:           4
        .value_kind:     by_value
      - .offset:         52
        .size:           4
        .value_kind:     by_value
      - .offset:         56
        .size:           8
        .value_kind:     by_value
      - .address_space:  global
        .offset:         64
        .size:           8
        .value_kind:     global_buffer
      - .offset:         72
        .size:           8
        .value_kind:     by_value
      - .offset:         80
        .size:           4
        .value_kind:     by_value
      - .offset:         84
        .size:           4
        .value_kind:     by_value
      - .offset:         88
        .size:           8
        .value_kind:     by_value
      - .offset:         96
        .size:           8
        .value_kind:     by_value
      - .address_space:  global
        .offset:         104
        .size:           8
        .value_kind:     global_buffer
      - .offset:         112
        .size:           8
        .value_kind:     by_value
      - .offset:         120
        .size:           4
        .value_kind:     by_value
      - .offset:         124
        .size:           4
        .value_kind:     by_value
      - .offset:         128
        .size:           8
        .value_kind:     by_value
    .group_segment_fixed_size: 0
    .kernarg_segment_align: 8
    .kernarg_segment_size: 136
    .language:       OpenCL C
    .language_version:
      - 2
      - 0
    .max_flat_workgroup_size: 1024
    .name:           _ZN9rocsolver6v33100L16mfma_gemm_kernelIdidPKPdS2_S4_EEv18rocblas_operation_S5_T0_S6_S6_T1_T2_lS6_S6_lT3_lS6_S6_lS7_T4_lS6_S6_l
    .private_segment_fixed_size: 0
    .sgpr_count:     0
    .sgpr_spill_count: 0
    .symbol:         _ZN9rocsolver6v33100L16mfma_gemm_kernelIdidPKPdS2_S4_EEv18rocblas_operation_S5_T0_S6_S6_T1_T2_lS6_S6_lT3_lS6_S6_lS7_T4_lS6_S6_l.kd
    .uniform_work_group_size: 1
    .uses_dynamic_stack: false
    .vgpr_count:     0
    .vgpr_spill_count: 0
    .wavefront_size: 32
  - .args:
      - .offset:         0
        .size:           4
        .value_kind:     by_value
      - .offset:         4
        .size:           4
        .value_kind:     by_value
      - .offset:         8
        .size:           4
        .value_kind:     by_value
      - .address_space:  global
        .offset:         16
        .size:           8
        .value_kind:     global_buffer
      - .offset:         24
        .size:           1
        .value_kind:     by_value
      - .address_space:  global
        .offset:         32
        .size:           8
        .value_kind:     global_buffer
      - .offset:         40
        .size:           8
        .value_kind:     by_value
      - .offset:         48
        .size:           4
        .value_kind:     by_value
      - .offset:         52
        .size:           4
        .value_kind:     by_value
      - .offset:         56
        .size:           8
        .value_kind:     by_value
      - .offset:         64
        .size:           1
        .value_kind:     by_value
      - .address_space:  global
        .offset:         72
        .size:           8
        .value_kind:     global_buffer
      - .offset:         80
        .size:           8
        .value_kind:     by_value
      - .offset:         88
        .size:           4
        .value_kind:     by_value
      - .offset:         92
        .size:           4
        .value_kind:     by_value
      - .offset:         96
        .size:           8
        .value_kind:     by_value
      - .address_space:  global
        .offset:         104
        .size:           8
        .value_kind:     global_buffer
      - .address_space:  global
        .offset:         112
        .size:           8
        .value_kind:     global_buffer
      - .offset:         120
        .size:           8
        .value_kind:     by_value
      - .offset:         128
        .size:           4
        .value_kind:     by_value
      - .offset:         132
        .size:           4
        .value_kind:     by_value
      - .offset:         136
        .size:           8
        .value_kind:     by_value
      - .offset:         144
        .size:           4
        .value_kind:     hidden_block_count_x
      - .offset:         148
        .size:           4
        .value_kind:     hidden_block_count_y
      - .offset:         152
        .size:           4
        .value_kind:     hidden_block_count_z
      - .offset:         156
        .size:           2
        .value_kind:     hidden_group_size_x
      - .offset:         158
        .size:           2
        .value_kind:     hidden_group_size_y
      - .offset:         160
        .size:           2
        .value_kind:     hidden_group_size_z
      - .offset:         162
        .size:           2
        .value_kind:     hidden_remainder_x
      - .offset:         164
        .size:           2
        .value_kind:     hidden_remainder_y
      - .offset:         166
        .size:           2
        .value_kind:     hidden_remainder_z
      - .offset:         184
        .size:           8
        .value_kind:     hidden_global_offset_x
      - .offset:         192
        .size:           8
        .value_kind:     hidden_global_offset_y
      - .offset:         200
        .size:           8
        .value_kind:     hidden_global_offset_z
      - .offset:         208
        .size:           2
        .value_kind:     hidden_grid_dims
    .group_segment_fixed_size: 0
    .kernarg_segment_align: 8
    .kernarg_segment_size: 400
    .language:       OpenCL C
    .language_version:
      - 2
      - 0
    .max_flat_workgroup_size: 1024
    .name:           _ZN9rocsolver6v33100L11gemm_kernelIdiPKdPKPdS4_S6_EEvT0_S7_S7_T1_bT2_lS7_S7_lbT3_lS7_S7_lS8_T4_lS7_S7_l
    .private_segment_fixed_size: 0
    .sgpr_count:     30
    .sgpr_spill_count: 0
    .symbol:         _ZN9rocsolver6v33100L11gemm_kernelIdiPKdPKPdS4_S6_EEvT0_S7_S7_T1_bT2_lS7_S7_lbT3_lS7_S7_lS8_T4_lS7_S7_l.kd
    .uniform_work_group_size: 1
    .uses_dynamic_stack: false
    .vgpr_count:     12
    .vgpr_spill_count: 0
    .wavefront_size: 32
  - .args:
      - .offset:         0
        .size:           4
        .value_kind:     by_value
      - .offset:         4
        .size:           4
        .value_kind:     by_value
      - .offset:         8
        .size:           4
        .value_kind:     by_value
      - .offset:         16
        .size:           8
        .value_kind:     by_value
      - .offset:         24
        .size:           1
        .value_kind:     by_value
      - .address_space:  global
        .offset:         32
        .size:           8
        .value_kind:     global_buffer
      - .offset:         40
        .size:           8
        .value_kind:     by_value
      - .offset:         48
        .size:           4
        .value_kind:     by_value
      - .offset:         52
        .size:           4
        .value_kind:     by_value
      - .offset:         56
        .size:           8
        .value_kind:     by_value
      - .offset:         64
        .size:           1
        .value_kind:     by_value
      - .address_space:  global
        .offset:         72
        .size:           8
        .value_kind:     global_buffer
      - .offset:         80
        .size:           8
        .value_kind:     by_value
      - .offset:         88
        .size:           4
        .value_kind:     by_value
      - .offset:         92
        .size:           4
        .value_kind:     by_value
      - .offset:         96
        .size:           8
        .value_kind:     by_value
      - .offset:         104
        .size:           8
        .value_kind:     by_value
      - .address_space:  global
        .offset:         112
        .size:           8
        .value_kind:     global_buffer
      - .offset:         120
        .size:           8
        .value_kind:     by_value
      - .offset:         128
        .size:           4
        .value_kind:     by_value
      - .offset:         132
        .size:           4
        .value_kind:     by_value
      - .offset:         136
        .size:           8
        .value_kind:     by_value
      - .offset:         144
        .size:           4
        .value_kind:     hidden_block_count_x
      - .offset:         148
        .size:           4
        .value_kind:     hidden_block_count_y
      - .offset:         152
        .size:           4
        .value_kind:     hidden_block_count_z
      - .offset:         156
        .size:           2
        .value_kind:     hidden_group_size_x
      - .offset:         158
        .size:           2
        .value_kind:     hidden_group_size_y
      - .offset:         160
        .size:           2
        .value_kind:     hidden_group_size_z
      - .offset:         162
        .size:           2
        .value_kind:     hidden_remainder_x
      - .offset:         164
        .size:           2
        .value_kind:     hidden_remainder_y
      - .offset:         166
        .size:           2
        .value_kind:     hidden_remainder_z
      - .offset:         184
        .size:           8
        .value_kind:     hidden_global_offset_x
      - .offset:         192
        .size:           8
        .value_kind:     hidden_global_offset_y
      - .offset:         200
        .size:           8
        .value_kind:     hidden_global_offset_z
      - .offset:         208
        .size:           2
        .value_kind:     hidden_grid_dims
    .group_segment_fixed_size: 0
    .kernarg_segment_align: 8
    .kernarg_segment_size: 400
    .language:       OpenCL C
    .language_version:
      - 2
      - 0
    .max_flat_workgroup_size: 1024
    .name:           _ZN9rocsolver6v33100L11gemm_kernelIdidPKPdS2_S4_EEvT0_S5_S5_T1_bT2_lS5_S5_lbT3_lS5_S5_lS6_T4_lS5_S5_l
    .private_segment_fixed_size: 0
    .sgpr_count:     28
    .sgpr_spill_count: 0
    .symbol:         _ZN9rocsolver6v33100L11gemm_kernelIdidPKPdS2_S4_EEvT0_S5_S5_T1_bT2_lS5_S5_lbT3_lS5_S5_lS6_T4_lS5_S5_l.kd
    .uniform_work_group_size: 1
    .uses_dynamic_stack: false
    .vgpr_count:     12
    .vgpr_spill_count: 0
    .wavefront_size: 32
  - .args:
      - .offset:         0
        .size:           4
        .value_kind:     by_value
      - .offset:         4
        .size:           4
        .value_kind:     by_value
      - .offset:         8
        .size:           4
        .value_kind:     by_value
      - .offset:         12
        .size:           4
        .value_kind:     by_value
      - .offset:         16
        .size:           4
        .value_kind:     by_value
      - .address_space:  global
        .offset:         24
        .size:           8
        .value_kind:     global_buffer
      - .address_space:  global
        .offset:         32
        .size:           8
        .value_kind:     global_buffer
      - .offset:         40
        .size:           8
        .value_kind:     by_value
      - .offset:         48
        .size:           4
        .value_kind:     by_value
      - .offset:         52
        .size:           4
        .value_kind:     by_value
      - .offset:         56
        .size:           8
        .value_kind:     by_value
      - .address_space:  global
        .offset:         64
        .size:           8
        .value_kind:     global_buffer
      - .offset:         72
        .size:           8
        .value_kind:     by_value
      - .offset:         80
        .size:           4
        .value_kind:     by_value
      - .offset:         84
        .size:           4
        .value_kind:     by_value
      - .offset:         88
        .size:           8
        .value_kind:     by_value
      - .address_space:  global
        .offset:         96
        .size:           8
        .value_kind:     global_buffer
      - .address_space:  global
        .offset:         104
        .size:           8
        .value_kind:     global_buffer
      - .offset:         112
        .size:           8
        .value_kind:     by_value
      - .offset:         120
        .size:           4
        .value_kind:     by_value
      - .offset:         124
        .size:           4
        .value_kind:     by_value
      - .offset:         128
        .size:           8
        .value_kind:     by_value
    .group_segment_fixed_size: 0
    .kernarg_segment_align: 8
    .kernarg_segment_size: 136
    .language:       OpenCL C
    .language_version:
      - 2
      - 0
    .max_flat_workgroup_size: 1024
    .name:           _ZN9rocsolver6v33100L16mfma_gemm_kernelIdiPKdPKPdS6_S4_EEv18rocblas_operation_S7_T0_S8_S8_T1_T2_lS8_S8_lT3_lS8_S8_lS9_T4_lS8_S8_l
    .private_segment_fixed_size: 0
    .sgpr_count:     0
    .sgpr_spill_count: 0
    .symbol:         _ZN9rocsolver6v33100L16mfma_gemm_kernelIdiPKdPKPdS6_S4_EEv18rocblas_operation_S7_T0_S8_S8_T1_T2_lS8_S8_lT3_lS8_S8_lS9_T4_lS8_S8_l.kd
    .uniform_work_group_size: 1
    .uses_dynamic_stack: false
    .vgpr_count:     0
    .vgpr_spill_count: 0
    .wavefront_size: 32
  - .args:
      - .offset:         0
        .size:           4
        .value_kind:     by_value
      - .offset:         4
        .size:           4
        .value_kind:     by_value
      - .offset:         8
        .size:           4
        .value_kind:     by_value
      - .offset:         12
        .size:           4
        .value_kind:     by_value
      - .offset:         16
        .size:           4
        .value_kind:     by_value
      - .offset:         24
        .size:           8
        .value_kind:     by_value
      - .address_space:  global
        .offset:         32
        .size:           8
        .value_kind:     global_buffer
      - .offset:         40
        .size:           8
        .value_kind:     by_value
      - .offset:         48
        .size:           4
        .value_kind:     by_value
      - .offset:         52
        .size:           4
        .value_kind:     by_value
      - .offset:         56
        .size:           8
        .value_kind:     by_value
      - .address_space:  global
        .offset:         64
        .size:           8
        .value_kind:     global_buffer
      - .offset:         72
        .size:           8
        .value_kind:     by_value
      - .offset:         80
        .size:           4
        .value_kind:     by_value
      - .offset:         84
        .size:           4
        .value_kind:     by_value
      - .offset:         88
        .size:           8
        .value_kind:     by_value
      - .offset:         96
        .size:           8
        .value_kind:     by_value
      - .address_space:  global
        .offset:         104
        .size:           8
        .value_kind:     global_buffer
      - .offset:         112
        .size:           8
        .value_kind:     by_value
      - .offset:         120
        .size:           4
        .value_kind:     by_value
      - .offset:         124
        .size:           4
        .value_kind:     by_value
      - .offset:         128
        .size:           8
        .value_kind:     by_value
    .group_segment_fixed_size: 0
    .kernarg_segment_align: 8
    .kernarg_segment_size: 136
    .language:       OpenCL C
    .language_version:
      - 2
      - 0
    .max_flat_workgroup_size: 1024
    .name:           _ZN9rocsolver6v33100L16mfma_gemm_kernelIdidPKPdS4_S2_EEv18rocblas_operation_S5_T0_S6_S6_T1_T2_lS6_S6_lT3_lS6_S6_lS7_T4_lS6_S6_l
    .private_segment_fixed_size: 0
    .sgpr_count:     0
    .sgpr_spill_count: 0
    .symbol:         _ZN9rocsolver6v33100L16mfma_gemm_kernelIdidPKPdS4_S2_EEv18rocblas_operation_S5_T0_S6_S6_T1_T2_lS6_S6_lT3_lS6_S6_lS7_T4_lS6_S6_l.kd
    .uniform_work_group_size: 1
    .uses_dynamic_stack: false
    .vgpr_count:     0
    .vgpr_spill_count: 0
    .wavefront_size: 32
  - .args:
      - .offset:         0
        .size:           4
        .value_kind:     by_value
      - .offset:         4
        .size:           4
        .value_kind:     by_value
      - .offset:         8
        .size:           4
        .value_kind:     by_value
      - .address_space:  global
        .offset:         16
        .size:           8
        .value_kind:     global_buffer
      - .offset:         24
        .size:           1
        .value_kind:     by_value
      - .address_space:  global
        .offset:         32
        .size:           8
        .value_kind:     global_buffer
      - .offset:         40
        .size:           8
        .value_kind:     by_value
      - .offset:         48
        .size:           4
        .value_kind:     by_value
      - .offset:         52
        .size:           4
        .value_kind:     by_value
      - .offset:         56
        .size:           8
        .value_kind:     by_value
      - .offset:         64
        .size:           1
        .value_kind:     by_value
      - .address_space:  global
        .offset:         72
        .size:           8
        .value_kind:     global_buffer
      - .offset:         80
        .size:           8
        .value_kind:     by_value
      - .offset:         88
        .size:           4
        .value_kind:     by_value
      - .offset:         92
        .size:           4
        .value_kind:     by_value
      - .offset:         96
        .size:           8
        .value_kind:     by_value
      - .address_space:  global
        .offset:         104
        .size:           8
        .value_kind:     global_buffer
      - .address_space:  global
        .offset:         112
        .size:           8
        .value_kind:     global_buffer
      - .offset:         120
        .size:           8
        .value_kind:     by_value
      - .offset:         128
        .size:           4
        .value_kind:     by_value
      - .offset:         132
        .size:           4
        .value_kind:     by_value
      - .offset:         136
        .size:           8
        .value_kind:     by_value
      - .offset:         144
        .size:           4
        .value_kind:     hidden_block_count_x
      - .offset:         148
        .size:           4
        .value_kind:     hidden_block_count_y
      - .offset:         152
        .size:           4
        .value_kind:     hidden_block_count_z
      - .offset:         156
        .size:           2
        .value_kind:     hidden_group_size_x
      - .offset:         158
        .size:           2
        .value_kind:     hidden_group_size_y
      - .offset:         160
        .size:           2
        .value_kind:     hidden_group_size_z
      - .offset:         162
        .size:           2
        .value_kind:     hidden_remainder_x
      - .offset:         164
        .size:           2
        .value_kind:     hidden_remainder_y
      - .offset:         166
        .size:           2
        .value_kind:     hidden_remainder_z
      - .offset:         184
        .size:           8
        .value_kind:     hidden_global_offset_x
      - .offset:         192
        .size:           8
        .value_kind:     hidden_global_offset_y
      - .offset:         200
        .size:           8
        .value_kind:     hidden_global_offset_z
      - .offset:         208
        .size:           2
        .value_kind:     hidden_grid_dims
    .group_segment_fixed_size: 0
    .kernarg_segment_align: 8
    .kernarg_segment_size: 400
    .language:       OpenCL C
    .language_version:
      - 2
      - 0
    .max_flat_workgroup_size: 1024
    .name:           _ZN9rocsolver6v33100L11gemm_kernelIdiPKdPKPdS6_S4_EEvT0_S7_S7_T1_bT2_lS7_S7_lbT3_lS7_S7_lS8_T4_lS7_S7_l
    .private_segment_fixed_size: 0
    .sgpr_count:     32
    .sgpr_spill_count: 0
    .symbol:         _ZN9rocsolver6v33100L11gemm_kernelIdiPKdPKPdS6_S4_EEvT0_S7_S7_T1_bT2_lS7_S7_lbT3_lS7_S7_lS8_T4_lS7_S7_l.kd
    .uniform_work_group_size: 1
    .uses_dynamic_stack: false
    .vgpr_count:     12
    .vgpr_spill_count: 0
    .wavefront_size: 32
  - .args:
      - .offset:         0
        .size:           4
        .value_kind:     by_value
      - .offset:         4
        .size:           4
        .value_kind:     by_value
      - .offset:         8
        .size:           4
        .value_kind:     by_value
      - .offset:         16
        .size:           8
        .value_kind:     by_value
      - .offset:         24
        .size:           1
        .value_kind:     by_value
      - .address_space:  global
        .offset:         32
        .size:           8
        .value_kind:     global_buffer
      - .offset:         40
        .size:           8
        .value_kind:     by_value
      - .offset:         48
        .size:           4
        .value_kind:     by_value
      - .offset:         52
        .size:           4
        .value_kind:     by_value
      - .offset:         56
        .size:           8
        .value_kind:     by_value
      - .offset:         64
        .size:           1
        .value_kind:     by_value
      - .address_space:  global
        .offset:         72
        .size:           8
        .value_kind:     global_buffer
      - .offset:         80
        .size:           8
        .value_kind:     by_value
      - .offset:         88
        .size:           4
        .value_kind:     by_value
      - .offset:         92
        .size:           4
        .value_kind:     by_value
      - .offset:         96
        .size:           8
        .value_kind:     by_value
      - .offset:         104
        .size:           8
        .value_kind:     by_value
      - .address_space:  global
        .offset:         112
        .size:           8
        .value_kind:     global_buffer
      - .offset:         120
        .size:           8
        .value_kind:     by_value
      - .offset:         128
        .size:           4
        .value_kind:     by_value
      - .offset:         132
        .size:           4
        .value_kind:     by_value
      - .offset:         136
        .size:           8
        .value_kind:     by_value
      - .offset:         144
        .size:           4
        .value_kind:     hidden_block_count_x
      - .offset:         148
        .size:           4
        .value_kind:     hidden_block_count_y
      - .offset:         152
        .size:           4
        .value_kind:     hidden_block_count_z
      - .offset:         156
        .size:           2
        .value_kind:     hidden_group_size_x
      - .offset:         158
        .size:           2
        .value_kind:     hidden_group_size_y
      - .offset:         160
        .size:           2
        .value_kind:     hidden_group_size_z
      - .offset:         162
        .size:           2
        .value_kind:     hidden_remainder_x
      - .offset:         164
        .size:           2
        .value_kind:     hidden_remainder_y
      - .offset:         166
        .size:           2
        .value_kind:     hidden_remainder_z
      - .offset:         184
        .size:           8
        .value_kind:     hidden_global_offset_x
      - .offset:         192
        .size:           8
        .value_kind:     hidden_global_offset_y
      - .offset:         200
        .size:           8
        .value_kind:     hidden_global_offset_z
      - .offset:         208
        .size:           2
        .value_kind:     hidden_grid_dims
    .group_segment_fixed_size: 0
    .kernarg_segment_align: 8
    .kernarg_segment_size: 400
    .language:       OpenCL C
    .language_version:
      - 2
      - 0
    .max_flat_workgroup_size: 1024
    .name:           _ZN9rocsolver6v33100L11gemm_kernelIdidPKPdS4_S2_EEvT0_S5_S5_T1_bT2_lS5_S5_lbT3_lS5_S5_lS6_T4_lS5_S5_l
    .private_segment_fixed_size: 0
    .sgpr_count:     24
    .sgpr_spill_count: 0
    .symbol:         _ZN9rocsolver6v33100L11gemm_kernelIdidPKPdS4_S2_EEvT0_S5_S5_T1_bT2_lS5_S5_lbT3_lS5_S5_lS6_T4_lS5_S5_l.kd
    .uniform_work_group_size: 1
    .uses_dynamic_stack: false
    .vgpr_count:     12
    .vgpr_spill_count: 0
    .wavefront_size: 32
  - .args:
      - .offset:         0
        .size:           4
        .value_kind:     by_value
      - .offset:         4
        .size:           4
        .value_kind:     by_value
      - .offset:         8
        .size:           4
        .value_kind:     by_value
      - .offset:         12
        .size:           4
        .value_kind:     by_value
      - .offset:         16
        .size:           4
        .value_kind:     by_value
      - .address_space:  global
        .offset:         24
        .size:           8
        .value_kind:     global_buffer
      - .address_space:  global
        .offset:         32
        .size:           8
        .value_kind:     global_buffer
      - .offset:         40
        .size:           8
        .value_kind:     by_value
      - .offset:         48
        .size:           4
        .value_kind:     by_value
      - .offset:         52
        .size:           4
        .value_kind:     by_value
      - .offset:         56
        .size:           8
        .value_kind:     by_value
      - .address_space:  global
        .offset:         64
        .size:           8
        .value_kind:     global_buffer
      - .offset:         72
        .size:           8
        .value_kind:     by_value
      - .offset:         80
        .size:           4
        .value_kind:     by_value
      - .offset:         84
        .size:           4
        .value_kind:     by_value
      - .offset:         88
        .size:           8
        .value_kind:     by_value
      - .address_space:  global
        .offset:         96
        .size:           8
        .value_kind:     global_buffer
      - .address_space:  global
        .offset:         104
        .size:           8
        .value_kind:     global_buffer
      - .offset:         112
        .size:           8
        .value_kind:     by_value
      - .offset:         120
        .size:           4
        .value_kind:     by_value
      - .offset:         124
        .size:           4
        .value_kind:     by_value
      - .offset:         128
        .size:           8
        .value_kind:     by_value
    .group_segment_fixed_size: 0
    .kernarg_segment_align: 8
    .kernarg_segment_size: 136
    .language:       OpenCL C
    .language_version:
      - 2
      - 0
    .max_flat_workgroup_size: 1024
    .name:           _ZN9rocsolver6v33100L16mfma_gemm_kernelIdiPKdPKPdS4_S4_EEv18rocblas_operation_S7_T0_S8_S8_T1_T2_lS8_S8_lT3_lS8_S8_lS9_T4_lS8_S8_l
    .private_segment_fixed_size: 0
    .sgpr_count:     0
    .sgpr_spill_count: 0
    .symbol:         _ZN9rocsolver6v33100L16mfma_gemm_kernelIdiPKdPKPdS4_S4_EEv18rocblas_operation_S7_T0_S8_S8_T1_T2_lS8_S8_lT3_lS8_S8_lS9_T4_lS8_S8_l.kd
    .uniform_work_group_size: 1
    .uses_dynamic_stack: false
    .vgpr_count:     0
    .vgpr_spill_count: 0
    .wavefront_size: 32
  - .args:
      - .offset:         0
        .size:           4
        .value_kind:     by_value
      - .offset:         4
        .size:           4
        .value_kind:     by_value
      - .offset:         8
        .size:           4
        .value_kind:     by_value
      - .offset:         12
        .size:           4
        .value_kind:     by_value
      - .offset:         16
        .size:           4
        .value_kind:     by_value
      - .offset:         24
        .size:           8
        .value_kind:     by_value
      - .address_space:  global
        .offset:         32
        .size:           8
        .value_kind:     global_buffer
      - .offset:         40
        .size:           8
        .value_kind:     by_value
      - .offset:         48
        .size:           4
        .value_kind:     by_value
      - .offset:         52
        .size:           4
        .value_kind:     by_value
      - .offset:         56
        .size:           8
        .value_kind:     by_value
      - .address_space:  global
        .offset:         64
        .size:           8
        .value_kind:     global_buffer
      - .offset:         72
        .size:           8
        .value_kind:     by_value
      - .offset:         80
        .size:           4
        .value_kind:     by_value
      - .offset:         84
        .size:           4
        .value_kind:     by_value
      - .offset:         88
        .size:           8
        .value_kind:     by_value
      - .offset:         96
        .size:           8
        .value_kind:     by_value
      - .address_space:  global
        .offset:         104
        .size:           8
        .value_kind:     global_buffer
      - .offset:         112
        .size:           8
        .value_kind:     by_value
      - .offset:         120
        .size:           4
        .value_kind:     by_value
      - .offset:         124
        .size:           4
        .value_kind:     by_value
      - .offset:         128
        .size:           8
        .value_kind:     by_value
    .group_segment_fixed_size: 0
    .kernarg_segment_align: 8
    .kernarg_segment_size: 136
    .language:       OpenCL C
    .language_version:
      - 2
      - 0
    .max_flat_workgroup_size: 1024
    .name:           _ZN9rocsolver6v33100L16mfma_gemm_kernelIdidPKPdS2_S2_EEv18rocblas_operation_S5_T0_S6_S6_T1_T2_lS6_S6_lT3_lS6_S6_lS7_T4_lS6_S6_l
    .private_segment_fixed_size: 0
    .sgpr_count:     0
    .sgpr_spill_count: 0
    .symbol:         _ZN9rocsolver6v33100L16mfma_gemm_kernelIdidPKPdS2_S2_EEv18rocblas_operation_S5_T0_S6_S6_T1_T2_lS6_S6_lT3_lS6_S6_lS7_T4_lS6_S6_l.kd
    .uniform_work_group_size: 1
    .uses_dynamic_stack: false
    .vgpr_count:     0
    .vgpr_spill_count: 0
    .wavefront_size: 32
  - .args:
      - .offset:         0
        .size:           4
        .value_kind:     by_value
      - .offset:         4
        .size:           4
        .value_kind:     by_value
      - .offset:         8
        .size:           4
        .value_kind:     by_value
      - .address_space:  global
        .offset:         16
        .size:           8
        .value_kind:     global_buffer
      - .offset:         24
        .size:           1
        .value_kind:     by_value
      - .address_space:  global
        .offset:         32
        .size:           8
        .value_kind:     global_buffer
      - .offset:         40
        .size:           8
        .value_kind:     by_value
      - .offset:         48
        .size:           4
        .value_kind:     by_value
      - .offset:         52
        .size:           4
        .value_kind:     by_value
      - .offset:         56
        .size:           8
        .value_kind:     by_value
      - .offset:         64
        .size:           1
        .value_kind:     by_value
      - .address_space:  global
        .offset:         72
        .size:           8
        .value_kind:     global_buffer
      - .offset:         80
        .size:           8
        .value_kind:     by_value
      - .offset:         88
        .size:           4
        .value_kind:     by_value
      - .offset:         92
        .size:           4
        .value_kind:     by_value
      - .offset:         96
        .size:           8
        .value_kind:     by_value
      - .address_space:  global
        .offset:         104
        .size:           8
        .value_kind:     global_buffer
      - .address_space:  global
        .offset:         112
        .size:           8
        .value_kind:     global_buffer
      - .offset:         120
        .size:           8
        .value_kind:     by_value
      - .offset:         128
        .size:           4
        .value_kind:     by_value
      - .offset:         132
        .size:           4
        .value_kind:     by_value
      - .offset:         136
        .size:           8
        .value_kind:     by_value
      - .offset:         144
        .size:           4
        .value_kind:     hidden_block_count_x
      - .offset:         148
        .size:           4
        .value_kind:     hidden_block_count_y
      - .offset:         152
        .size:           4
        .value_kind:     hidden_block_count_z
      - .offset:         156
        .size:           2
        .value_kind:     hidden_group_size_x
      - .offset:         158
        .size:           2
        .value_kind:     hidden_group_size_y
      - .offset:         160
        .size:           2
        .value_kind:     hidden_group_size_z
      - .offset:         162
        .size:           2
        .value_kind:     hidden_remainder_x
      - .offset:         164
        .size:           2
        .value_kind:     hidden_remainder_y
      - .offset:         166
        .size:           2
        .value_kind:     hidden_remainder_z
      - .offset:         184
        .size:           8
        .value_kind:     hidden_global_offset_x
      - .offset:         192
        .size:           8
        .value_kind:     hidden_global_offset_y
      - .offset:         200
        .size:           8
        .value_kind:     hidden_global_offset_z
      - .offset:         208
        .size:           2
        .value_kind:     hidden_grid_dims
    .group_segment_fixed_size: 0
    .kernarg_segment_align: 8
    .kernarg_segment_size: 400
    .language:       OpenCL C
    .language_version:
      - 2
      - 0
    .max_flat_workgroup_size: 1024
    .name:           _ZN9rocsolver6v33100L11gemm_kernelIdiPKdPKPdS4_S4_EEvT0_S7_S7_T1_bT2_lS7_S7_lbT3_lS7_S7_lS8_T4_lS7_S7_l
    .private_segment_fixed_size: 0
    .sgpr_count:     30
    .sgpr_spill_count: 0
    .symbol:         _ZN9rocsolver6v33100L11gemm_kernelIdiPKdPKPdS4_S4_EEvT0_S7_S7_T1_bT2_lS7_S7_lbT3_lS7_S7_lS8_T4_lS7_S7_l.kd
    .uniform_work_group_size: 1
    .uses_dynamic_stack: false
    .vgpr_count:     12
    .vgpr_spill_count: 0
    .wavefront_size: 32
  - .args:
      - .offset:         0
        .size:           4
        .value_kind:     by_value
      - .offset:         4
        .size:           4
        .value_kind:     by_value
      - .offset:         8
        .size:           4
        .value_kind:     by_value
      - .offset:         16
        .size:           8
        .value_kind:     by_value
      - .offset:         24
        .size:           1
        .value_kind:     by_value
      - .address_space:  global
        .offset:         32
        .size:           8
        .value_kind:     global_buffer
      - .offset:         40
        .size:           8
        .value_kind:     by_value
      - .offset:         48
        .size:           4
        .value_kind:     by_value
      - .offset:         52
        .size:           4
        .value_kind:     by_value
      - .offset:         56
        .size:           8
        .value_kind:     by_value
      - .offset:         64
        .size:           1
        .value_kind:     by_value
      - .address_space:  global
        .offset:         72
        .size:           8
        .value_kind:     global_buffer
      - .offset:         80
        .size:           8
        .value_kind:     by_value
      - .offset:         88
        .size:           4
        .value_kind:     by_value
      - .offset:         92
        .size:           4
        .value_kind:     by_value
      - .offset:         96
        .size:           8
        .value_kind:     by_value
      - .offset:         104
        .size:           8
        .value_kind:     by_value
      - .address_space:  global
        .offset:         112
        .size:           8
        .value_kind:     global_buffer
      - .offset:         120
        .size:           8
        .value_kind:     by_value
      - .offset:         128
        .size:           4
        .value_kind:     by_value
      - .offset:         132
        .size:           4
        .value_kind:     by_value
      - .offset:         136
        .size:           8
        .value_kind:     by_value
      - .offset:         144
        .size:           4
        .value_kind:     hidden_block_count_x
      - .offset:         148
        .size:           4
        .value_kind:     hidden_block_count_y
      - .offset:         152
        .size:           4
        .value_kind:     hidden_block_count_z
      - .offset:         156
        .size:           2
        .value_kind:     hidden_group_size_x
      - .offset:         158
        .size:           2
        .value_kind:     hidden_group_size_y
      - .offset:         160
        .size:           2
        .value_kind:     hidden_group_size_z
      - .offset:         162
        .size:           2
        .value_kind:     hidden_remainder_x
      - .offset:         164
        .size:           2
        .value_kind:     hidden_remainder_y
      - .offset:         166
        .size:           2
        .value_kind:     hidden_remainder_z
      - .offset:         184
        .size:           8
        .value_kind:     hidden_global_offset_x
      - .offset:         192
        .size:           8
        .value_kind:     hidden_global_offset_y
      - .offset:         200
        .size:           8
        .value_kind:     hidden_global_offset_z
      - .offset:         208
        .size:           2
        .value_kind:     hidden_grid_dims
    .group_segment_fixed_size: 0
    .kernarg_segment_align: 8
    .kernarg_segment_size: 400
    .language:       OpenCL C
    .language_version:
      - 2
      - 0
    .max_flat_workgroup_size: 1024
    .name:           _ZN9rocsolver6v33100L11gemm_kernelIdidPKPdS2_S2_EEvT0_S5_S5_T1_bT2_lS5_S5_lbT3_lS5_S5_lS6_T4_lS5_S5_l
    .private_segment_fixed_size: 0
    .sgpr_count:     28
    .sgpr_spill_count: 0
    .symbol:         _ZN9rocsolver6v33100L11gemm_kernelIdidPKPdS2_S2_EEvT0_S5_S5_T1_bT2_lS5_S5_lbT3_lS5_S5_lS6_T4_lS5_S5_l.kd
    .uniform_work_group_size: 1
    .uses_dynamic_stack: false
    .vgpr_count:     12
    .vgpr_spill_count: 0
    .wavefront_size: 32
  - .args:
      - .offset:         0
        .size:           4
        .value_kind:     by_value
      - .offset:         4
        .size:           4
        .value_kind:     by_value
      - .offset:         8
        .size:           4
        .value_kind:     by_value
      - .offset:         12
        .size:           4
        .value_kind:     by_value
      - .offset:         16
        .size:           4
        .value_kind:     by_value
      - .address_space:  global
        .offset:         24
        .size:           8
        .value_kind:     global_buffer
      - .address_space:  global
        .offset:         32
        .size:           8
        .value_kind:     global_buffer
      - .offset:         40
        .size:           8
        .value_kind:     by_value
      - .offset:         48
        .size:           4
        .value_kind:     by_value
      - .offset:         52
        .size:           4
        .value_kind:     by_value
      - .offset:         56
        .size:           8
        .value_kind:     by_value
      - .address_space:  global
        .offset:         64
        .size:           8
        .value_kind:     global_buffer
      - .offset:         72
        .size:           8
        .value_kind:     by_value
      - .offset:         80
        .size:           4
        .value_kind:     by_value
      - .offset:         84
        .size:           4
        .value_kind:     by_value
      - .offset:         88
        .size:           8
        .value_kind:     by_value
      - .address_space:  global
        .offset:         96
        .size:           8
        .value_kind:     global_buffer
      - .address_space:  global
        .offset:         104
        .size:           8
        .value_kind:     global_buffer
      - .offset:         112
        .size:           8
        .value_kind:     by_value
      - .offset:         120
        .size:           4
        .value_kind:     by_value
      - .offset:         124
        .size:           4
        .value_kind:     by_value
      - .offset:         128
        .size:           8
        .value_kind:     by_value
    .group_segment_fixed_size: 0
    .kernarg_segment_align: 8
    .kernarg_segment_size: 136
    .language:       OpenCL C
    .language_version:
      - 2
      - 0
    .max_flat_workgroup_size: 1024
    .name:           _ZN9rocsolver6v33100L16mfma_gemm_kernelIdiPKdPdPKS4_S4_EEv18rocblas_operation_S7_T0_S8_S8_T1_T2_lS8_S8_lT3_lS8_S8_lS9_T4_lS8_S8_l
    .private_segment_fixed_size: 0
    .sgpr_count:     0
    .sgpr_spill_count: 0
    .symbol:         _ZN9rocsolver6v33100L16mfma_gemm_kernelIdiPKdPdPKS4_S4_EEv18rocblas_operation_S7_T0_S8_S8_T1_T2_lS8_S8_lT3_lS8_S8_lS9_T4_lS8_S8_l.kd
    .uniform_work_group_size: 1
    .uses_dynamic_stack: false
    .vgpr_count:     0
    .vgpr_spill_count: 0
    .wavefront_size: 32
  - .args:
      - .offset:         0
        .size:           4
        .value_kind:     by_value
      - .offset:         4
        .size:           4
        .value_kind:     by_value
      - .offset:         8
        .size:           4
        .value_kind:     by_value
      - .offset:         12
        .size:           4
        .value_kind:     by_value
      - .offset:         16
        .size:           4
        .value_kind:     by_value
      - .offset:         24
        .size:           8
        .value_kind:     by_value
      - .address_space:  global
        .offset:         32
        .size:           8
        .value_kind:     global_buffer
      - .offset:         40
        .size:           8
        .value_kind:     by_value
      - .offset:         48
        .size:           4
        .value_kind:     by_value
      - .offset:         52
        .size:           4
        .value_kind:     by_value
      - .offset:         56
        .size:           8
        .value_kind:     by_value
      - .address_space:  global
        .offset:         64
        .size:           8
        .value_kind:     global_buffer
      - .offset:         72
        .size:           8
        .value_kind:     by_value
      - .offset:         80
        .size:           4
        .value_kind:     by_value
      - .offset:         84
        .size:           4
        .value_kind:     by_value
      - .offset:         88
        .size:           8
        .value_kind:     by_value
      - .offset:         96
        .size:           8
        .value_kind:     by_value
      - .address_space:  global
        .offset:         104
        .size:           8
        .value_kind:     global_buffer
      - .offset:         112
        .size:           8
        .value_kind:     by_value
      - .offset:         120
        .size:           4
        .value_kind:     by_value
      - .offset:         124
        .size:           4
        .value_kind:     by_value
      - .offset:         128
        .size:           8
        .value_kind:     by_value
    .group_segment_fixed_size: 0
    .kernarg_segment_align: 8
    .kernarg_segment_size: 136
    .language:       OpenCL C
    .language_version:
      - 2
      - 0
    .max_flat_workgroup_size: 1024
    .name:           _ZN9rocsolver6v33100L16mfma_gemm_kernelIdidPdPKS2_S2_EEv18rocblas_operation_S5_T0_S6_S6_T1_T2_lS6_S6_lT3_lS6_S6_lS7_T4_lS6_S6_l
    .private_segment_fixed_size: 0
    .sgpr_count:     0
    .sgpr_spill_count: 0
    .symbol:         _ZN9rocsolver6v33100L16mfma_gemm_kernelIdidPdPKS2_S2_EEv18rocblas_operation_S5_T0_S6_S6_T1_T2_lS6_S6_lT3_lS6_S6_lS7_T4_lS6_S6_l.kd
    .uniform_work_group_size: 1
    .uses_dynamic_stack: false
    .vgpr_count:     0
    .vgpr_spill_count: 0
    .wavefront_size: 32
  - .args:
      - .offset:         0
        .size:           4
        .value_kind:     by_value
      - .offset:         4
        .size:           4
        .value_kind:     by_value
      - .offset:         8
        .size:           4
        .value_kind:     by_value
      - .address_space:  global
        .offset:         16
        .size:           8
        .value_kind:     global_buffer
      - .offset:         24
        .size:           1
        .value_kind:     by_value
      - .address_space:  global
        .offset:         32
        .size:           8
        .value_kind:     global_buffer
      - .offset:         40
        .size:           8
        .value_kind:     by_value
      - .offset:         48
        .size:           4
        .value_kind:     by_value
      - .offset:         52
        .size:           4
        .value_kind:     by_value
      - .offset:         56
        .size:           8
        .value_kind:     by_value
      - .offset:         64
        .size:           1
        .value_kind:     by_value
      - .address_space:  global
        .offset:         72
        .size:           8
        .value_kind:     global_buffer
      - .offset:         80
        .size:           8
        .value_kind:     by_value
      - .offset:         88
        .size:           4
        .value_kind:     by_value
      - .offset:         92
        .size:           4
        .value_kind:     by_value
      - .offset:         96
        .size:           8
        .value_kind:     by_value
      - .address_space:  global
        .offset:         104
        .size:           8
        .value_kind:     global_buffer
      - .address_space:  global
        .offset:         112
        .size:           8
        .value_kind:     global_buffer
      - .offset:         120
        .size:           8
        .value_kind:     by_value
      - .offset:         128
        .size:           4
        .value_kind:     by_value
      - .offset:         132
        .size:           4
        .value_kind:     by_value
      - .offset:         136
        .size:           8
        .value_kind:     by_value
      - .offset:         144
        .size:           4
        .value_kind:     hidden_block_count_x
      - .offset:         148
        .size:           4
        .value_kind:     hidden_block_count_y
      - .offset:         152
        .size:           4
        .value_kind:     hidden_block_count_z
      - .offset:         156
        .size:           2
        .value_kind:     hidden_group_size_x
      - .offset:         158
        .size:           2
        .value_kind:     hidden_group_size_y
      - .offset:         160
        .size:           2
        .value_kind:     hidden_group_size_z
      - .offset:         162
        .size:           2
        .value_kind:     hidden_remainder_x
      - .offset:         164
        .size:           2
        .value_kind:     hidden_remainder_y
      - .offset:         166
        .size:           2
        .value_kind:     hidden_remainder_z
      - .offset:         184
        .size:           8
        .value_kind:     hidden_global_offset_x
      - .offset:         192
        .size:           8
        .value_kind:     hidden_global_offset_y
      - .offset:         200
        .size:           8
        .value_kind:     hidden_global_offset_z
      - .offset:         208
        .size:           2
        .value_kind:     hidden_grid_dims
    .group_segment_fixed_size: 0
    .kernarg_segment_align: 8
    .kernarg_segment_size: 400
    .language:       OpenCL C
    .language_version:
      - 2
      - 0
    .max_flat_workgroup_size: 1024
    .name:           _ZN9rocsolver6v33100L11gemm_kernelIdiPKdPdPKS4_S4_EEvT0_S7_S7_T1_bT2_lS7_S7_lbT3_lS7_S7_lS8_T4_lS7_S7_l
    .private_segment_fixed_size: 0
    .sgpr_count:     30
    .sgpr_spill_count: 0
    .symbol:         _ZN9rocsolver6v33100L11gemm_kernelIdiPKdPdPKS4_S4_EEvT0_S7_S7_T1_bT2_lS7_S7_lbT3_lS7_S7_lS8_T4_lS7_S7_l.kd
    .uniform_work_group_size: 1
    .uses_dynamic_stack: false
    .vgpr_count:     12
    .vgpr_spill_count: 0
    .wavefront_size: 32
  - .args:
      - .offset:         0
        .size:           4
        .value_kind:     by_value
      - .offset:         4
        .size:           4
        .value_kind:     by_value
      - .offset:         8
        .size:           4
        .value_kind:     by_value
      - .offset:         16
        .size:           8
        .value_kind:     by_value
      - .offset:         24
        .size:           1
        .value_kind:     by_value
      - .address_space:  global
        .offset:         32
        .size:           8
        .value_kind:     global_buffer
      - .offset:         40
        .size:           8
        .value_kind:     by_value
      - .offset:         48
        .size:           4
        .value_kind:     by_value
      - .offset:         52
        .size:           4
        .value_kind:     by_value
      - .offset:         56
        .size:           8
        .value_kind:     by_value
      - .offset:         64
        .size:           1
        .value_kind:     by_value
      - .address_space:  global
        .offset:         72
        .size:           8
        .value_kind:     global_buffer
      - .offset:         80
        .size:           8
        .value_kind:     by_value
      - .offset:         88
        .size:           4
        .value_kind:     by_value
      - .offset:         92
        .size:           4
        .value_kind:     by_value
      - .offset:         96
        .size:           8
        .value_kind:     by_value
      - .offset:         104
        .size:           8
        .value_kind:     by_value
      - .address_space:  global
        .offset:         112
        .size:           8
        .value_kind:     global_buffer
      - .offset:         120
        .size:           8
        .value_kind:     by_value
      - .offset:         128
        .size:           4
        .value_kind:     by_value
      - .offset:         132
        .size:           4
        .value_kind:     by_value
      - .offset:         136
        .size:           8
        .value_kind:     by_value
      - .offset:         144
        .size:           4
        .value_kind:     hidden_block_count_x
      - .offset:         148
        .size:           4
        .value_kind:     hidden_block_count_y
      - .offset:         152
        .size:           4
        .value_kind:     hidden_block_count_z
      - .offset:         156
        .size:           2
        .value_kind:     hidden_group_size_x
      - .offset:         158
        .size:           2
        .value_kind:     hidden_group_size_y
      - .offset:         160
        .size:           2
        .value_kind:     hidden_group_size_z
      - .offset:         162
        .size:           2
        .value_kind:     hidden_remainder_x
      - .offset:         164
        .size:           2
        .value_kind:     hidden_remainder_y
      - .offset:         166
        .size:           2
        .value_kind:     hidden_remainder_z
      - .offset:         184
        .size:           8
        .value_kind:     hidden_global_offset_x
      - .offset:         192
        .size:           8
        .value_kind:     hidden_global_offset_y
      - .offset:         200
        .size:           8
        .value_kind:     hidden_global_offset_z
      - .offset:         208
        .size:           2
        .value_kind:     hidden_grid_dims
    .group_segment_fixed_size: 0
    .kernarg_segment_align: 8
    .kernarg_segment_size: 400
    .language:       OpenCL C
    .language_version:
      - 2
      - 0
    .max_flat_workgroup_size: 1024
    .name:           _ZN9rocsolver6v33100L11gemm_kernelIdidPdPKS2_S2_EEvT0_S5_S5_T1_bT2_lS5_S5_lbT3_lS5_S5_lS6_T4_lS5_S5_l
    .private_segment_fixed_size: 0
    .sgpr_count:     22
    .sgpr_spill_count: 0
    .symbol:         _ZN9rocsolver6v33100L11gemm_kernelIdidPdPKS2_S2_EEvT0_S5_S5_T1_bT2_lS5_S5_lbT3_lS5_S5_lS6_T4_lS5_S5_l.kd
    .uniform_work_group_size: 1
    .uses_dynamic_stack: false
    .vgpr_count:     12
    .vgpr_spill_count: 0
    .wavefront_size: 32
  - .args:
      - .offset:         0
        .size:           4
        .value_kind:     by_value
      - .offset:         4
        .size:           4
        .value_kind:     by_value
      - .offset:         8
        .size:           4
        .value_kind:     by_value
      - .offset:         12
        .size:           4
        .value_kind:     by_value
      - .offset:         16
        .size:           4
        .value_kind:     by_value
      - .address_space:  global
        .offset:         24
        .size:           8
        .value_kind:     global_buffer
      - .address_space:  global
        .offset:         32
        .size:           8
        .value_kind:     global_buffer
      - .offset:         40
        .size:           8
        .value_kind:     by_value
      - .offset:         48
        .size:           4
        .value_kind:     by_value
      - .offset:         52
        .size:           4
        .value_kind:     by_value
      - .offset:         56
        .size:           8
        .value_kind:     by_value
      - .address_space:  global
        .offset:         64
        .size:           8
        .value_kind:     global_buffer
      - .offset:         72
        .size:           8
        .value_kind:     by_value
      - .offset:         80
        .size:           4
        .value_kind:     by_value
      - .offset:         84
        .size:           4
        .value_kind:     by_value
      - .offset:         88
        .size:           8
        .value_kind:     by_value
      - .address_space:  global
        .offset:         96
        .size:           8
        .value_kind:     global_buffer
      - .address_space:  global
        .offset:         104
        .size:           8
        .value_kind:     global_buffer
      - .offset:         112
        .size:           8
        .value_kind:     by_value
      - .offset:         120
        .size:           4
        .value_kind:     by_value
      - .offset:         124
        .size:           4
        .value_kind:     by_value
      - .offset:         128
        .size:           8
        .value_kind:     by_value
    .group_segment_fixed_size: 0
    .kernarg_segment_align: 8
    .kernarg_segment_size: 136
    .language:       OpenCL C
    .language_version:
      - 2
      - 0
    .max_flat_workgroup_size: 1024
    .name:           _ZN9rocsolver6v33100L16mfma_gemm_kernelIdiPKdPdS4_PKS4_EEv18rocblas_operation_S7_T0_S8_S8_T1_T2_lS8_S8_lT3_lS8_S8_lS9_T4_lS8_S8_l
    .private_segment_fixed_size: 0
    .sgpr_count:     0
    .sgpr_spill_count: 0
    .symbol:         _ZN9rocsolver6v33100L16mfma_gemm_kernelIdiPKdPdS4_PKS4_EEv18rocblas_operation_S7_T0_S8_S8_T1_T2_lS8_S8_lT3_lS8_S8_lS9_T4_lS8_S8_l.kd
    .uniform_work_group_size: 1
    .uses_dynamic_stack: false
    .vgpr_count:     0
    .vgpr_spill_count: 0
    .wavefront_size: 32
  - .args:
      - .offset:         0
        .size:           4
        .value_kind:     by_value
      - .offset:         4
        .size:           4
        .value_kind:     by_value
      - .offset:         8
        .size:           4
        .value_kind:     by_value
      - .offset:         12
        .size:           4
        .value_kind:     by_value
      - .offset:         16
        .size:           4
        .value_kind:     by_value
      - .offset:         24
        .size:           8
        .value_kind:     by_value
      - .address_space:  global
        .offset:         32
        .size:           8
        .value_kind:     global_buffer
      - .offset:         40
        .size:           8
        .value_kind:     by_value
      - .offset:         48
        .size:           4
        .value_kind:     by_value
      - .offset:         52
        .size:           4
        .value_kind:     by_value
      - .offset:         56
        .size:           8
        .value_kind:     by_value
      - .address_space:  global
        .offset:         64
        .size:           8
        .value_kind:     global_buffer
      - .offset:         72
        .size:           8
        .value_kind:     by_value
      - .offset:         80
        .size:           4
        .value_kind:     by_value
      - .offset:         84
        .size:           4
        .value_kind:     by_value
      - .offset:         88
        .size:           8
        .value_kind:     by_value
      - .offset:         96
        .size:           8
        .value_kind:     by_value
      - .address_space:  global
        .offset:         104
        .size:           8
        .value_kind:     global_buffer
      - .offset:         112
        .size:           8
        .value_kind:     by_value
      - .offset:         120
        .size:           4
        .value_kind:     by_value
      - .offset:         124
        .size:           4
        .value_kind:     by_value
      - .offset:         128
        .size:           8
        .value_kind:     by_value
    .group_segment_fixed_size: 0
    .kernarg_segment_align: 8
    .kernarg_segment_size: 136
    .language:       OpenCL C
    .language_version:
      - 2
      - 0
    .max_flat_workgroup_size: 1024
    .name:           _ZN9rocsolver6v33100L16mfma_gemm_kernelIdidPdS2_PKS2_EEv18rocblas_operation_S5_T0_S6_S6_T1_T2_lS6_S6_lT3_lS6_S6_lS7_T4_lS6_S6_l
    .private_segment_fixed_size: 0
    .sgpr_count:     0
    .sgpr_spill_count: 0
    .symbol:         _ZN9rocsolver6v33100L16mfma_gemm_kernelIdidPdS2_PKS2_EEv18rocblas_operation_S5_T0_S6_S6_T1_T2_lS6_S6_lT3_lS6_S6_lS7_T4_lS6_S6_l.kd
    .uniform_work_group_size: 1
    .uses_dynamic_stack: false
    .vgpr_count:     0
    .vgpr_spill_count: 0
    .wavefront_size: 32
  - .args:
      - .offset:         0
        .size:           4
        .value_kind:     by_value
      - .offset:         4
        .size:           4
        .value_kind:     by_value
      - .offset:         8
        .size:           4
        .value_kind:     by_value
      - .address_space:  global
        .offset:         16
        .size:           8
        .value_kind:     global_buffer
      - .offset:         24
        .size:           1
        .value_kind:     by_value
      - .address_space:  global
        .offset:         32
        .size:           8
        .value_kind:     global_buffer
      - .offset:         40
        .size:           8
        .value_kind:     by_value
      - .offset:         48
        .size:           4
        .value_kind:     by_value
      - .offset:         52
        .size:           4
        .value_kind:     by_value
      - .offset:         56
        .size:           8
        .value_kind:     by_value
      - .offset:         64
        .size:           1
        .value_kind:     by_value
      - .address_space:  global
        .offset:         72
        .size:           8
        .value_kind:     global_buffer
      - .offset:         80
        .size:           8
        .value_kind:     by_value
      - .offset:         88
        .size:           4
        .value_kind:     by_value
      - .offset:         92
        .size:           4
        .value_kind:     by_value
      - .offset:         96
        .size:           8
        .value_kind:     by_value
      - .address_space:  global
        .offset:         104
        .size:           8
        .value_kind:     global_buffer
      - .address_space:  global
        .offset:         112
        .size:           8
        .value_kind:     global_buffer
      - .offset:         120
        .size:           8
        .value_kind:     by_value
      - .offset:         128
        .size:           4
        .value_kind:     by_value
      - .offset:         132
        .size:           4
        .value_kind:     by_value
      - .offset:         136
        .size:           8
        .value_kind:     by_value
      - .offset:         144
        .size:           4
        .value_kind:     hidden_block_count_x
      - .offset:         148
        .size:           4
        .value_kind:     hidden_block_count_y
      - .offset:         152
        .size:           4
        .value_kind:     hidden_block_count_z
      - .offset:         156
        .size:           2
        .value_kind:     hidden_group_size_x
      - .offset:         158
        .size:           2
        .value_kind:     hidden_group_size_y
      - .offset:         160
        .size:           2
        .value_kind:     hidden_group_size_z
      - .offset:         162
        .size:           2
        .value_kind:     hidden_remainder_x
      - .offset:         164
        .size:           2
        .value_kind:     hidden_remainder_y
      - .offset:         166
        .size:           2
        .value_kind:     hidden_remainder_z
      - .offset:         184
        .size:           8
        .value_kind:     hidden_global_offset_x
      - .offset:         192
        .size:           8
        .value_kind:     hidden_global_offset_y
      - .offset:         200
        .size:           8
        .value_kind:     hidden_global_offset_z
      - .offset:         208
        .size:           2
        .value_kind:     hidden_grid_dims
    .group_segment_fixed_size: 0
    .kernarg_segment_align: 8
    .kernarg_segment_size: 400
    .language:       OpenCL C
    .language_version:
      - 2
      - 0
    .max_flat_workgroup_size: 1024
    .name:           _ZN9rocsolver6v33100L11gemm_kernelIdiPKdPdS4_PKS4_EEvT0_S7_S7_T1_bT2_lS7_S7_lbT3_lS7_S7_lS8_T4_lS7_S7_l
    .private_segment_fixed_size: 0
    .sgpr_count:     32
    .sgpr_spill_count: 0
    .symbol:         _ZN9rocsolver6v33100L11gemm_kernelIdiPKdPdS4_PKS4_EEvT0_S7_S7_T1_bT2_lS7_S7_lbT3_lS7_S7_lS8_T4_lS7_S7_l.kd
    .uniform_work_group_size: 1
    .uses_dynamic_stack: false
    .vgpr_count:     12
    .vgpr_spill_count: 0
    .wavefront_size: 32
  - .args:
      - .offset:         0
        .size:           4
        .value_kind:     by_value
      - .offset:         4
        .size:           4
        .value_kind:     by_value
      - .offset:         8
        .size:           4
        .value_kind:     by_value
      - .offset:         16
        .size:           8
        .value_kind:     by_value
      - .offset:         24
        .size:           1
        .value_kind:     by_value
      - .address_space:  global
        .offset:         32
        .size:           8
        .value_kind:     global_buffer
      - .offset:         40
        .size:           8
        .value_kind:     by_value
      - .offset:         48
        .size:           4
        .value_kind:     by_value
      - .offset:         52
        .size:           4
        .value_kind:     by_value
      - .offset:         56
        .size:           8
        .value_kind:     by_value
      - .offset:         64
        .size:           1
        .value_kind:     by_value
      - .address_space:  global
        .offset:         72
        .size:           8
        .value_kind:     global_buffer
      - .offset:         80
        .size:           8
        .value_kind:     by_value
      - .offset:         88
        .size:           4
        .value_kind:     by_value
      - .offset:         92
        .size:           4
        .value_kind:     by_value
      - .offset:         96
        .size:           8
        .value_kind:     by_value
      - .offset:         104
        .size:           8
        .value_kind:     by_value
      - .address_space:  global
        .offset:         112
        .size:           8
        .value_kind:     global_buffer
      - .offset:         120
        .size:           8
        .value_kind:     by_value
      - .offset:         128
        .size:           4
        .value_kind:     by_value
      - .offset:         132
        .size:           4
        .value_kind:     by_value
      - .offset:         136
        .size:           8
        .value_kind:     by_value
      - .offset:         144
        .size:           4
        .value_kind:     hidden_block_count_x
      - .offset:         148
        .size:           4
        .value_kind:     hidden_block_count_y
      - .offset:         152
        .size:           4
        .value_kind:     hidden_block_count_z
      - .offset:         156
        .size:           2
        .value_kind:     hidden_group_size_x
      - .offset:         158
        .size:           2
        .value_kind:     hidden_group_size_y
      - .offset:         160
        .size:           2
        .value_kind:     hidden_group_size_z
      - .offset:         162
        .size:           2
        .value_kind:     hidden_remainder_x
      - .offset:         164
        .size:           2
        .value_kind:     hidden_remainder_y
      - .offset:         166
        .size:           2
        .value_kind:     hidden_remainder_z
      - .offset:         184
        .size:           8
        .value_kind:     hidden_global_offset_x
      - .offset:         192
        .size:           8
        .value_kind:     hidden_global_offset_y
      - .offset:         200
        .size:           8
        .value_kind:     hidden_global_offset_z
      - .offset:         208
        .size:           2
        .value_kind:     hidden_grid_dims
    .group_segment_fixed_size: 0
    .kernarg_segment_align: 8
    .kernarg_segment_size: 400
    .language:       OpenCL C
    .language_version:
      - 2
      - 0
    .max_flat_workgroup_size: 1024
    .name:           _ZN9rocsolver6v33100L11gemm_kernelIdidPdS2_PKS2_EEvT0_S5_S5_T1_bT2_lS5_S5_lbT3_lS5_S5_lS6_T4_lS5_S5_l
    .private_segment_fixed_size: 0
    .sgpr_count:     29
    .sgpr_spill_count: 0
    .symbol:         _ZN9rocsolver6v33100L11gemm_kernelIdidPdS2_PKS2_EEvT0_S5_S5_T1_bT2_lS5_S5_lbT3_lS5_S5_lS6_T4_lS5_S5_l.kd
    .uniform_work_group_size: 1
    .uses_dynamic_stack: false
    .vgpr_count:     12
    .vgpr_spill_count: 0
    .wavefront_size: 32
  - .args:
      - .offset:         0
        .size:           4
        .value_kind:     by_value
      - .offset:         4
        .size:           4
        .value_kind:     by_value
      - .offset:         8
        .size:           8
        .value_kind:     by_value
      - .offset:         16
        .size:           8
        .value_kind:     by_value
      - .offset:         24
        .size:           8
        .value_kind:     by_value
      - .address_space:  global
        .offset:         32
        .size:           8
        .value_kind:     global_buffer
      - .address_space:  global
        .offset:         40
        .size:           8
        .value_kind:     global_buffer
      - .offset:         48
        .size:           8
        .value_kind:     by_value
      - .offset:         56
        .size:           8
        .value_kind:     by_value
      - .offset:         64
        .size:           8
        .value_kind:     by_value
      - .offset:         72
        .size:           8
        .value_kind:     by_value
      - .address_space:  global
        .offset:         80
        .size:           8
        .value_kind:     global_buffer
      - .offset:         88
        .size:           8
        .value_kind:     by_value
      - .offset:         96
        .size:           8
        .value_kind:     by_value
      - .offset:         104
        .size:           8
        .value_kind:     by_value
      - .offset:         112
        .size:           8
        .value_kind:     by_value
      - .address_space:  global
        .offset:         120
        .size:           8
        .value_kind:     global_buffer
      - .address_space:  global
        .offset:         128
        .size:           8
        .value_kind:     global_buffer
      - .offset:         136
        .size:           8
        .value_kind:     by_value
      - .offset:         144
        .size:           8
        .value_kind:     by_value
      - .offset:         152
        .size:           8
        .value_kind:     by_value
      - .offset:         160
        .size:           8
        .value_kind:     by_value
    .group_segment_fixed_size: 0
    .kernarg_segment_align: 8
    .kernarg_segment_size: 168
    .language:       OpenCL C
    .language_version:
      - 2
      - 0
    .max_flat_workgroup_size: 1024
    .name:           _ZN9rocsolver6v33100L16mfma_gemm_kernelIdlPKdPdS4_S4_EEv18rocblas_operation_S5_T0_S6_S6_T1_T2_lS6_S6_lT3_lS6_S6_lS7_T4_lS6_S6_l
    .private_segment_fixed_size: 0
    .sgpr_count:     0
    .sgpr_spill_count: 0
    .symbol:         _ZN9rocsolver6v33100L16mfma_gemm_kernelIdlPKdPdS4_S4_EEv18rocblas_operation_S5_T0_S6_S6_T1_T2_lS6_S6_lT3_lS6_S6_lS7_T4_lS6_S6_l.kd
    .uniform_work_group_size: 1
    .uses_dynamic_stack: false
    .vgpr_count:     0
    .vgpr_spill_count: 0
    .wavefront_size: 32
  - .args:
      - .offset:         0
        .size:           4
        .value_kind:     by_value
      - .offset:         4
        .size:           4
        .value_kind:     by_value
      - .offset:         8
        .size:           8
        .value_kind:     by_value
      - .offset:         16
        .size:           8
        .value_kind:     by_value
      - .offset:         24
        .size:           8
        .value_kind:     by_value
      - .offset:         32
        .size:           8
        .value_kind:     by_value
      - .address_space:  global
        .offset:         40
        .size:           8
        .value_kind:     global_buffer
      - .offset:         48
        .size:           8
        .value_kind:     by_value
      - .offset:         56
        .size:           8
        .value_kind:     by_value
      - .offset:         64
        .size:           8
        .value_kind:     by_value
      - .offset:         72
        .size:           8
        .value_kind:     by_value
      - .address_space:  global
        .offset:         80
        .size:           8
        .value_kind:     global_buffer
      - .offset:         88
        .size:           8
        .value_kind:     by_value
      - .offset:         96
        .size:           8
        .value_kind:     by_value
      - .offset:         104
        .size:           8
        .value_kind:     by_value
      - .offset:         112
        .size:           8
        .value_kind:     by_value
      - .offset:         120
        .size:           8
        .value_kind:     by_value
      - .address_space:  global
        .offset:         128
        .size:           8
        .value_kind:     global_buffer
      - .offset:         136
        .size:           8
        .value_kind:     by_value
      - .offset:         144
        .size:           8
        .value_kind:     by_value
      - .offset:         152
        .size:           8
        .value_kind:     by_value
      - .offset:         160
        .size:           8
        .value_kind:     by_value
    .group_segment_fixed_size: 0
    .kernarg_segment_align: 8
    .kernarg_segment_size: 168
    .language:       OpenCL C
    .language_version:
      - 2
      - 0
    .max_flat_workgroup_size: 1024
    .name:           _ZN9rocsolver6v33100L16mfma_gemm_kernelIdldPdS2_S2_EEv18rocblas_operation_S3_T0_S4_S4_T1_T2_lS4_S4_lT3_lS4_S4_lS5_T4_lS4_S4_l
    .private_segment_fixed_size: 0
    .sgpr_count:     0
    .sgpr_spill_count: 0
    .symbol:         _ZN9rocsolver6v33100L16mfma_gemm_kernelIdldPdS2_S2_EEv18rocblas_operation_S3_T0_S4_S4_T1_T2_lS4_S4_lT3_lS4_S4_lS5_T4_lS4_S4_l.kd
    .uniform_work_group_size: 1
    .uses_dynamic_stack: false
    .vgpr_count:     0
    .vgpr_spill_count: 0
    .wavefront_size: 32
  - .args:
      - .offset:         0
        .size:           8
        .value_kind:     by_value
      - .offset:         8
        .size:           8
        .value_kind:     by_value
      - .offset:         16
        .size:           8
        .value_kind:     by_value
      - .address_space:  global
        .offset:         24
        .size:           8
        .value_kind:     global_buffer
      - .offset:         32
        .size:           1
        .value_kind:     by_value
      - .address_space:  global
        .offset:         40
        .size:           8
        .value_kind:     global_buffer
      - .offset:         48
        .size:           8
        .value_kind:     by_value
      - .offset:         56
        .size:           8
        .value_kind:     by_value
      - .offset:         64
        .size:           8
        .value_kind:     by_value
      - .offset:         72
        .size:           8
        .value_kind:     by_value
      - .offset:         80
        .size:           1
        .value_kind:     by_value
      - .address_space:  global
        .offset:         88
        .size:           8
        .value_kind:     global_buffer
      - .offset:         96
        .size:           8
        .value_kind:     by_value
      - .offset:         104
        .size:           8
        .value_kind:     by_value
      - .offset:         112
        .size:           8
        .value_kind:     by_value
      - .offset:         120
        .size:           8
        .value_kind:     by_value
      - .address_space:  global
        .offset:         128
        .size:           8
        .value_kind:     global_buffer
      - .address_space:  global
        .offset:         136
        .size:           8
        .value_kind:     global_buffer
      - .offset:         144
        .size:           8
        .value_kind:     by_value
      - .offset:         152
        .size:           8
        .value_kind:     by_value
      - .offset:         160
        .size:           8
        .value_kind:     by_value
      - .offset:         168
        .size:           8
        .value_kind:     by_value
      - .offset:         176
        .size:           4
        .value_kind:     hidden_block_count_x
      - .offset:         180
        .size:           4
        .value_kind:     hidden_block_count_y
      - .offset:         184
        .size:           4
        .value_kind:     hidden_block_count_z
      - .offset:         188
        .size:           2
        .value_kind:     hidden_group_size_x
      - .offset:         190
        .size:           2
        .value_kind:     hidden_group_size_y
      - .offset:         192
        .size:           2
        .value_kind:     hidden_group_size_z
      - .offset:         194
        .size:           2
        .value_kind:     hidden_remainder_x
      - .offset:         196
        .size:           2
        .value_kind:     hidden_remainder_y
      - .offset:         198
        .size:           2
        .value_kind:     hidden_remainder_z
      - .offset:         216
        .size:           8
        .value_kind:     hidden_global_offset_x
      - .offset:         224
        .size:           8
        .value_kind:     hidden_global_offset_y
      - .offset:         232
        .size:           8
        .value_kind:     hidden_global_offset_z
      - .offset:         240
        .size:           2
        .value_kind:     hidden_grid_dims
    .group_segment_fixed_size: 0
    .kernarg_segment_align: 8
    .kernarg_segment_size: 432
    .language:       OpenCL C
    .language_version:
      - 2
      - 0
    .max_flat_workgroup_size: 1024
    .name:           _ZN9rocsolver6v33100L11gemm_kernelIdlPKdPdS4_S4_EEvT0_S5_S5_T1_bT2_lS5_S5_lbT3_lS5_S5_lS6_T4_lS5_S5_l
    .private_segment_fixed_size: 0
    .sgpr_count:     34
    .sgpr_spill_count: 0
    .symbol:         _ZN9rocsolver6v33100L11gemm_kernelIdlPKdPdS4_S4_EEvT0_S5_S5_T1_bT2_lS5_S5_lbT3_lS5_S5_lS6_T4_lS5_S5_l.kd
    .uniform_work_group_size: 1
    .uses_dynamic_stack: false
    .vgpr_count:     14
    .vgpr_spill_count: 0
    .wavefront_size: 32
  - .args:
      - .offset:         0
        .size:           8
        .value_kind:     by_value
      - .offset:         8
        .size:           8
        .value_kind:     by_value
      - .offset:         16
        .size:           8
        .value_kind:     by_value
      - .offset:         24
        .size:           8
        .value_kind:     by_value
      - .offset:         32
        .size:           1
        .value_kind:     by_value
      - .address_space:  global
        .offset:         40
        .size:           8
        .value_kind:     global_buffer
      - .offset:         48
        .size:           8
        .value_kind:     by_value
      - .offset:         56
        .size:           8
        .value_kind:     by_value
      - .offset:         64
        .size:           8
        .value_kind:     by_value
      - .offset:         72
        .size:           8
        .value_kind:     by_value
      - .offset:         80
        .size:           1
        .value_kind:     by_value
      - .address_space:  global
        .offset:         88
        .size:           8
        .value_kind:     global_buffer
      - .offset:         96
        .size:           8
        .value_kind:     by_value
      - .offset:         104
        .size:           8
        .value_kind:     by_value
      - .offset:         112
        .size:           8
        .value_kind:     by_value
      - .offset:         120
        .size:           8
        .value_kind:     by_value
      - .offset:         128
        .size:           8
        .value_kind:     by_value
      - .address_space:  global
        .offset:         136
        .size:           8
        .value_kind:     global_buffer
      - .offset:         144
        .size:           8
        .value_kind:     by_value
      - .offset:         152
        .size:           8
        .value_kind:     by_value
      - .offset:         160
        .size:           8
        .value_kind:     by_value
      - .offset:         168
        .size:           8
        .value_kind:     by_value
      - .offset:         176
        .size:           4
        .value_kind:     hidden_block_count_x
      - .offset:         180
        .size:           4
        .value_kind:     hidden_block_count_y
      - .offset:         184
        .size:           4
        .value_kind:     hidden_block_count_z
      - .offset:         188
        .size:           2
        .value_kind:     hidden_group_size_x
      - .offset:         190
        .size:           2
        .value_kind:     hidden_group_size_y
      - .offset:         192
        .size:           2
        .value_kind:     hidden_group_size_z
      - .offset:         194
        .size:           2
        .value_kind:     hidden_remainder_x
      - .offset:         196
        .size:           2
        .value_kind:     hidden_remainder_y
      - .offset:         198
        .size:           2
        .value_kind:     hidden_remainder_z
      - .offset:         216
        .size:           8
        .value_kind:     hidden_global_offset_x
      - .offset:         224
        .size:           8
        .value_kind:     hidden_global_offset_y
      - .offset:         232
        .size:           8
        .value_kind:     hidden_global_offset_z
      - .offset:         240
        .size:           2
        .value_kind:     hidden_grid_dims
    .group_segment_fixed_size: 0
    .kernarg_segment_align: 8
    .kernarg_segment_size: 432
    .language:       OpenCL C
    .language_version:
      - 2
      - 0
    .max_flat_workgroup_size: 1024
    .name:           _ZN9rocsolver6v33100L11gemm_kernelIdldPdS2_S2_EEvT0_S3_S3_T1_bT2_lS3_S3_lbT3_lS3_S3_lS4_T4_lS3_S3_l
    .private_segment_fixed_size: 0
    .sgpr_count:     34
    .sgpr_spill_count: 0
    .symbol:         _ZN9rocsolver6v33100L11gemm_kernelIdldPdS2_S2_EEvT0_S3_S3_T1_bT2_lS3_S3_lbT3_lS3_S3_lS4_T4_lS3_S3_l.kd
    .uniform_work_group_size: 1
    .uses_dynamic_stack: false
    .vgpr_count:     14
    .vgpr_spill_count: 0
    .wavefront_size: 32
  - .args:
      - .offset:         0
        .size:           4
        .value_kind:     by_value
      - .offset:         4
        .size:           4
        .value_kind:     by_value
      - .offset:         8
        .size:           8
        .value_kind:     by_value
      - .offset:         16
        .size:           8
        .value_kind:     by_value
      - .offset:         24
        .size:           8
        .value_kind:     by_value
      - .address_space:  global
        .offset:         32
        .size:           8
        .value_kind:     global_buffer
      - .address_space:  global
        .offset:         40
        .size:           8
        .value_kind:     global_buffer
      - .offset:         48
        .size:           8
        .value_kind:     by_value
      - .offset:         56
        .size:           8
        .value_kind:     by_value
      - .offset:         64
        .size:           8
        .value_kind:     by_value
      - .offset:         72
        .size:           8
        .value_kind:     by_value
      - .address_space:  global
        .offset:         80
        .size:           8
        .value_kind:     global_buffer
      - .offset:         88
        .size:           8
        .value_kind:     by_value
      - .offset:         96
        .size:           8
        .value_kind:     by_value
      - .offset:         104
        .size:           8
        .value_kind:     by_value
      - .offset:         112
        .size:           8
        .value_kind:     by_value
      - .address_space:  global
        .offset:         120
        .size:           8
        .value_kind:     global_buffer
      - .address_space:  global
        .offset:         128
        .size:           8
        .value_kind:     global_buffer
      - .offset:         136
        .size:           8
        .value_kind:     by_value
      - .offset:         144
        .size:           8
        .value_kind:     by_value
      - .offset:         152
        .size:           8
        .value_kind:     by_value
      - .offset:         160
        .size:           8
        .value_kind:     by_value
    .group_segment_fixed_size: 0
    .kernarg_segment_align: 8
    .kernarg_segment_size: 168
    .language:       OpenCL C
    .language_version:
      - 2
      - 0
    .max_flat_workgroup_size: 1024
    .name:           _ZN9rocsolver6v33100L16mfma_gemm_kernelIdlPKdPKPdS6_S6_EEv18rocblas_operation_S7_T0_S8_S8_T1_T2_lS8_S8_lT3_lS8_S8_lS9_T4_lS8_S8_l
    .private_segment_fixed_size: 0
    .sgpr_count:     0
    .sgpr_spill_count: 0
    .symbol:         _ZN9rocsolver6v33100L16mfma_gemm_kernelIdlPKdPKPdS6_S6_EEv18rocblas_operation_S7_T0_S8_S8_T1_T2_lS8_S8_lT3_lS8_S8_lS9_T4_lS8_S8_l.kd
    .uniform_work_group_size: 1
    .uses_dynamic_stack: false
    .vgpr_count:     0
    .vgpr_spill_count: 0
    .wavefront_size: 32
  - .args:
      - .offset:         0
        .size:           4
        .value_kind:     by_value
      - .offset:         4
        .size:           4
        .value_kind:     by_value
      - .offset:         8
        .size:           8
        .value_kind:     by_value
      - .offset:         16
        .size:           8
        .value_kind:     by_value
      - .offset:         24
        .size:           8
        .value_kind:     by_value
      - .offset:         32
        .size:           8
        .value_kind:     by_value
      - .address_space:  global
        .offset:         40
        .size:           8
        .value_kind:     global_buffer
      - .offset:         48
        .size:           8
        .value_kind:     by_value
      - .offset:         56
        .size:           8
        .value_kind:     by_value
      - .offset:         64
        .size:           8
        .value_kind:     by_value
      - .offset:         72
        .size:           8
        .value_kind:     by_value
      - .address_space:  global
        .offset:         80
        .size:           8
        .value_kind:     global_buffer
      - .offset:         88
        .size:           8
        .value_kind:     by_value
      - .offset:         96
        .size:           8
        .value_kind:     by_value
      - .offset:         104
        .size:           8
        .value_kind:     by_value
      - .offset:         112
        .size:           8
        .value_kind:     by_value
      - .offset:         120
        .size:           8
        .value_kind:     by_value
      - .address_space:  global
        .offset:         128
        .size:           8
        .value_kind:     global_buffer
      - .offset:         136
        .size:           8
        .value_kind:     by_value
      - .offset:         144
        .size:           8
        .value_kind:     by_value
      - .offset:         152
        .size:           8
        .value_kind:     by_value
      - .offset:         160
        .size:           8
        .value_kind:     by_value
    .group_segment_fixed_size: 0
    .kernarg_segment_align: 8
    .kernarg_segment_size: 168
    .language:       OpenCL C
    .language_version:
      - 2
      - 0
    .max_flat_workgroup_size: 1024
    .name:           _ZN9rocsolver6v33100L16mfma_gemm_kernelIdldPKPdS4_S4_EEv18rocblas_operation_S5_T0_S6_S6_T1_T2_lS6_S6_lT3_lS6_S6_lS7_T4_lS6_S6_l
    .private_segment_fixed_size: 0
    .sgpr_count:     0
    .sgpr_spill_count: 0
    .symbol:         _ZN9rocsolver6v33100L16mfma_gemm_kernelIdldPKPdS4_S4_EEv18rocblas_operation_S5_T0_S6_S6_T1_T2_lS6_S6_lT3_lS6_S6_lS7_T4_lS6_S6_l.kd
    .uniform_work_group_size: 1
    .uses_dynamic_stack: false
    .vgpr_count:     0
    .vgpr_spill_count: 0
    .wavefront_size: 32
  - .args:
      - .offset:         0
        .size:           8
        .value_kind:     by_value
      - .offset:         8
        .size:           8
        .value_kind:     by_value
      - .offset:         16
        .size:           8
        .value_kind:     by_value
      - .address_space:  global
        .offset:         24
        .size:           8
        .value_kind:     global_buffer
      - .offset:         32
        .size:           1
        .value_kind:     by_value
      - .address_space:  global
        .offset:         40
        .size:           8
        .value_kind:     global_buffer
      - .offset:         48
        .size:           8
        .value_kind:     by_value
      - .offset:         56
        .size:           8
        .value_kind:     by_value
      - .offset:         64
        .size:           8
        .value_kind:     by_value
      - .offset:         72
        .size:           8
        .value_kind:     by_value
      - .offset:         80
        .size:           1
        .value_kind:     by_value
      - .address_space:  global
        .offset:         88
        .size:           8
        .value_kind:     global_buffer
      - .offset:         96
        .size:           8
        .value_kind:     by_value
      - .offset:         104
        .size:           8
        .value_kind:     by_value
      - .offset:         112
        .size:           8
        .value_kind:     by_value
      - .offset:         120
        .size:           8
        .value_kind:     by_value
      - .address_space:  global
        .offset:         128
        .size:           8
        .value_kind:     global_buffer
      - .address_space:  global
        .offset:         136
        .size:           8
        .value_kind:     global_buffer
      - .offset:         144
        .size:           8
        .value_kind:     by_value
      - .offset:         152
        .size:           8
        .value_kind:     by_value
      - .offset:         160
        .size:           8
        .value_kind:     by_value
      - .offset:         168
        .size:           8
        .value_kind:     by_value
      - .offset:         176
        .size:           4
        .value_kind:     hidden_block_count_x
      - .offset:         180
        .size:           4
        .value_kind:     hidden_block_count_y
      - .offset:         184
        .size:           4
        .value_kind:     hidden_block_count_z
      - .offset:         188
        .size:           2
        .value_kind:     hidden_group_size_x
      - .offset:         190
        .size:           2
        .value_kind:     hidden_group_size_y
      - .offset:         192
        .size:           2
        .value_kind:     hidden_group_size_z
      - .offset:         194
        .size:           2
        .value_kind:     hidden_remainder_x
      - .offset:         196
        .size:           2
        .value_kind:     hidden_remainder_y
      - .offset:         198
        .size:           2
        .value_kind:     hidden_remainder_z
      - .offset:         216
        .size:           8
        .value_kind:     hidden_global_offset_x
      - .offset:         224
        .size:           8
        .value_kind:     hidden_global_offset_y
      - .offset:         232
        .size:           8
        .value_kind:     hidden_global_offset_z
      - .offset:         240
        .size:           2
        .value_kind:     hidden_grid_dims
    .group_segment_fixed_size: 0
    .kernarg_segment_align: 8
    .kernarg_segment_size: 432
    .language:       OpenCL C
    .language_version:
      - 2
      - 0
    .max_flat_workgroup_size: 1024
    .name:           _ZN9rocsolver6v33100L11gemm_kernelIdlPKdPKPdS6_S6_EEvT0_S7_S7_T1_bT2_lS7_S7_lbT3_lS7_S7_lS8_T4_lS7_S7_l
    .private_segment_fixed_size: 0
    .sgpr_count:     46
    .sgpr_spill_count: 0
    .symbol:         _ZN9rocsolver6v33100L11gemm_kernelIdlPKdPKPdS6_S6_EEvT0_S7_S7_T1_bT2_lS7_S7_lbT3_lS7_S7_lS8_T4_lS7_S7_l.kd
    .uniform_work_group_size: 1
    .uses_dynamic_stack: false
    .vgpr_count:     14
    .vgpr_spill_count: 0
    .wavefront_size: 32
  - .args:
      - .offset:         0
        .size:           8
        .value_kind:     by_value
      - .offset:         8
        .size:           8
        .value_kind:     by_value
      - .offset:         16
        .size:           8
        .value_kind:     by_value
      - .offset:         24
        .size:           8
        .value_kind:     by_value
      - .offset:         32
        .size:           1
        .value_kind:     by_value
      - .address_space:  global
        .offset:         40
        .size:           8
        .value_kind:     global_buffer
      - .offset:         48
        .size:           8
        .value_kind:     by_value
      - .offset:         56
        .size:           8
        .value_kind:     by_value
      - .offset:         64
        .size:           8
        .value_kind:     by_value
      - .offset:         72
        .size:           8
        .value_kind:     by_value
      - .offset:         80
        .size:           1
        .value_kind:     by_value
      - .address_space:  global
        .offset:         88
        .size:           8
        .value_kind:     global_buffer
      - .offset:         96
        .size:           8
        .value_kind:     by_value
      - .offset:         104
        .size:           8
        .value_kind:     by_value
      - .offset:         112
        .size:           8
        .value_kind:     by_value
      - .offset:         120
        .size:           8
        .value_kind:     by_value
      - .offset:         128
        .size:           8
        .value_kind:     by_value
      - .address_space:  global
        .offset:         136
        .size:           8
        .value_kind:     global_buffer
      - .offset:         144
        .size:           8
        .value_kind:     by_value
      - .offset:         152
        .size:           8
        .value_kind:     by_value
      - .offset:         160
        .size:           8
        .value_kind:     by_value
      - .offset:         168
        .size:           8
        .value_kind:     by_value
      - .offset:         176
        .size:           4
        .value_kind:     hidden_block_count_x
      - .offset:         180
        .size:           4
        .value_kind:     hidden_block_count_y
      - .offset:         184
        .size:           4
        .value_kind:     hidden_block_count_z
      - .offset:         188
        .size:           2
        .value_kind:     hidden_group_size_x
      - .offset:         190
        .size:           2
        .value_kind:     hidden_group_size_y
      - .offset:         192
        .size:           2
        .value_kind:     hidden_group_size_z
      - .offset:         194
        .size:           2
        .value_kind:     hidden_remainder_x
      - .offset:         196
        .size:           2
        .value_kind:     hidden_remainder_y
      - .offset:         198
        .size:           2
        .value_kind:     hidden_remainder_z
      - .offset:         216
        .size:           8
        .value_kind:     hidden_global_offset_x
      - .offset:         224
        .size:           8
        .value_kind:     hidden_global_offset_y
      - .offset:         232
        .size:           8
        .value_kind:     hidden_global_offset_z
      - .offset:         240
        .size:           2
        .value_kind:     hidden_grid_dims
    .group_segment_fixed_size: 0
    .kernarg_segment_align: 8
    .kernarg_segment_size: 432
    .language:       OpenCL C
    .language_version:
      - 2
      - 0
    .max_flat_workgroup_size: 1024
    .name:           _ZN9rocsolver6v33100L11gemm_kernelIdldPKPdS4_S4_EEvT0_S5_S5_T1_bT2_lS5_S5_lbT3_lS5_S5_lS6_T4_lS5_S5_l
    .private_segment_fixed_size: 0
    .sgpr_count:     46
    .sgpr_spill_count: 0
    .symbol:         _ZN9rocsolver6v33100L11gemm_kernelIdldPKPdS4_S4_EEvT0_S5_S5_T1_bT2_lS5_S5_lbT3_lS5_S5_lS6_T4_lS5_S5_l.kd
    .uniform_work_group_size: 1
    .uses_dynamic_stack: false
    .vgpr_count:     14
    .vgpr_spill_count: 0
    .wavefront_size: 32
  - .args:
      - .address_space:  global
        .offset:         0
        .size:           8
        .value_kind:     global_buffer
      - .address_space:  global
        .offset:         8
        .size:           8
        .value_kind:     global_buffer
      - .offset:         16
        .size:           8
        .value_kind:     by_value
      - .offset:         24
        .size:           8
        .value_kind:     by_value
      - .offset:         32
        .size:           4
        .value_kind:     hidden_block_count_x
      - .offset:         36
        .size:           4
        .value_kind:     hidden_block_count_y
      - .offset:         40
        .size:           4
        .value_kind:     hidden_block_count_z
      - .offset:         44
        .size:           2
        .value_kind:     hidden_group_size_x
      - .offset:         46
        .size:           2
        .value_kind:     hidden_group_size_y
      - .offset:         48
        .size:           2
        .value_kind:     hidden_group_size_z
      - .offset:         50
        .size:           2
        .value_kind:     hidden_remainder_x
      - .offset:         52
        .size:           2
        .value_kind:     hidden_remainder_y
      - .offset:         54
        .size:           2
        .value_kind:     hidden_remainder_z
      - .offset:         72
        .size:           8
        .value_kind:     hidden_global_offset_x
      - .offset:         80
        .size:           8
        .value_kind:     hidden_global_offset_y
      - .offset:         88
        .size:           8
        .value_kind:     hidden_global_offset_z
      - .offset:         96
        .size:           2
        .value_kind:     hidden_grid_dims
    .group_segment_fixed_size: 0
    .kernarg_segment_align: 8
    .kernarg_segment_size: 288
    .language:       OpenCL C
    .language_version:
      - 2
      - 0
    .max_flat_workgroup_size: 1024
    .name:           _ZN9rocsolver6v33100L9get_arrayIdlEEvPPT_S3_lT0_
    .private_segment_fixed_size: 0
    .sgpr_count:     13
    .sgpr_spill_count: 0
    .symbol:         _ZN9rocsolver6v33100L9get_arrayIdlEEvPPT_S3_lT0_.kd
    .uniform_work_group_size: 1
    .uses_dynamic_stack: false
    .vgpr_count:     4
    .vgpr_spill_count: 0
    .wavefront_size: 32
  - .args:
      - .offset:         0
        .size:           4
        .value_kind:     by_value
      - .offset:         4
        .size:           4
        .value_kind:     by_value
      - .offset:         8
        .size:           8
        .value_kind:     by_value
      - .offset:         16
        .size:           8
        .value_kind:     by_value
      - .offset:         24
        .size:           8
        .value_kind:     by_value
      - .address_space:  global
        .offset:         32
        .size:           8
        .value_kind:     global_buffer
      - .address_space:  global
        .offset:         40
        .size:           8
        .value_kind:     global_buffer
      - .offset:         48
        .size:           8
        .value_kind:     by_value
      - .offset:         56
        .size:           8
        .value_kind:     by_value
      - .offset:         64
        .size:           8
        .value_kind:     by_value
      - .offset:         72
        .size:           8
        .value_kind:     by_value
      - .address_space:  global
        .offset:         80
        .size:           8
        .value_kind:     global_buffer
      - .offset:         88
        .size:           8
        .value_kind:     by_value
      - .offset:         96
        .size:           8
        .value_kind:     by_value
      - .offset:         104
        .size:           8
        .value_kind:     by_value
      - .offset:         112
        .size:           8
        .value_kind:     by_value
      - .address_space:  global
        .offset:         120
        .size:           8
        .value_kind:     global_buffer
      - .address_space:  global
        .offset:         128
        .size:           8
        .value_kind:     global_buffer
      - .offset:         136
        .size:           8
        .value_kind:     by_value
      - .offset:         144
        .size:           8
        .value_kind:     by_value
      - .offset:         152
        .size:           8
        .value_kind:     by_value
      - .offset:         160
        .size:           8
        .value_kind:     by_value
    .group_segment_fixed_size: 0
    .kernarg_segment_align: 8
    .kernarg_segment_size: 168
    .language:       OpenCL C
    .language_version:
      - 2
      - 0
    .max_flat_workgroup_size: 1024
    .name:           _ZN9rocsolver6v33100L16mfma_gemm_kernelIdlPKdPdPKS4_S6_EEv18rocblas_operation_S7_T0_S8_S8_T1_T2_lS8_S8_lT3_lS8_S8_lS9_T4_lS8_S8_l
    .private_segment_fixed_size: 0
    .sgpr_count:     0
    .sgpr_spill_count: 0
    .symbol:         _ZN9rocsolver6v33100L16mfma_gemm_kernelIdlPKdPdPKS4_S6_EEv18rocblas_operation_S7_T0_S8_S8_T1_T2_lS8_S8_lT3_lS8_S8_lS9_T4_lS8_S8_l.kd
    .uniform_work_group_size: 1
    .uses_dynamic_stack: false
    .vgpr_count:     0
    .vgpr_spill_count: 0
    .wavefront_size: 32
  - .args:
      - .offset:         0
        .size:           4
        .value_kind:     by_value
      - .offset:         4
        .size:           4
        .value_kind:     by_value
      - .offset:         8
        .size:           8
        .value_kind:     by_value
      - .offset:         16
        .size:           8
        .value_kind:     by_value
      - .offset:         24
        .size:           8
        .value_kind:     by_value
      - .offset:         32
        .size:           8
        .value_kind:     by_value
      - .address_space:  global
        .offset:         40
        .size:           8
        .value_kind:     global_buffer
      - .offset:         48
        .size:           8
        .value_kind:     by_value
      - .offset:         56
        .size:           8
        .value_kind:     by_value
      - .offset:         64
        .size:           8
        .value_kind:     by_value
      - .offset:         72
        .size:           8
        .value_kind:     by_value
      - .address_space:  global
        .offset:         80
        .size:           8
        .value_kind:     global_buffer
      - .offset:         88
        .size:           8
        .value_kind:     by_value
      - .offset:         96
        .size:           8
        .value_kind:     by_value
      - .offset:         104
        .size:           8
        .value_kind:     by_value
      - .offset:         112
        .size:           8
        .value_kind:     by_value
      - .offset:         120
        .size:           8
        .value_kind:     by_value
      - .address_space:  global
        .offset:         128
        .size:           8
        .value_kind:     global_buffer
      - .offset:         136
        .size:           8
        .value_kind:     by_value
      - .offset:         144
        .size:           8
        .value_kind:     by_value
      - .offset:         152
        .size:           8
        .value_kind:     by_value
      - .offset:         160
        .size:           8
        .value_kind:     by_value
    .group_segment_fixed_size: 0
    .kernarg_segment_align: 8
    .kernarg_segment_size: 168
    .language:       OpenCL C
    .language_version:
      - 2
      - 0
    .max_flat_workgroup_size: 1024
    .name:           _ZN9rocsolver6v33100L16mfma_gemm_kernelIdldPdPKS2_S4_EEv18rocblas_operation_S5_T0_S6_S6_T1_T2_lS6_S6_lT3_lS6_S6_lS7_T4_lS6_S6_l
    .private_segment_fixed_size: 0
    .sgpr_count:     0
    .sgpr_spill_count: 0
    .symbol:         _ZN9rocsolver6v33100L16mfma_gemm_kernelIdldPdPKS2_S4_EEv18rocblas_operation_S5_T0_S6_S6_T1_T2_lS6_S6_lT3_lS6_S6_lS7_T4_lS6_S6_l.kd
    .uniform_work_group_size: 1
    .uses_dynamic_stack: false
    .vgpr_count:     0
    .vgpr_spill_count: 0
    .wavefront_size: 32
  - .args:
      - .offset:         0
        .size:           8
        .value_kind:     by_value
      - .offset:         8
        .size:           8
        .value_kind:     by_value
      - .offset:         16
        .size:           8
        .value_kind:     by_value
      - .address_space:  global
        .offset:         24
        .size:           8
        .value_kind:     global_buffer
      - .offset:         32
        .size:           1
        .value_kind:     by_value
      - .address_space:  global
        .offset:         40
        .size:           8
        .value_kind:     global_buffer
      - .offset:         48
        .size:           8
        .value_kind:     by_value
      - .offset:         56
        .size:           8
        .value_kind:     by_value
      - .offset:         64
        .size:           8
        .value_kind:     by_value
      - .offset:         72
        .size:           8
        .value_kind:     by_value
      - .offset:         80
        .size:           1
        .value_kind:     by_value
      - .address_space:  global
        .offset:         88
        .size:           8
        .value_kind:     global_buffer
      - .offset:         96
        .size:           8
        .value_kind:     by_value
      - .offset:         104
        .size:           8
        .value_kind:     by_value
      - .offset:         112
        .size:           8
        .value_kind:     by_value
      - .offset:         120
        .size:           8
        .value_kind:     by_value
      - .address_space:  global
        .offset:         128
        .size:           8
        .value_kind:     global_buffer
      - .address_space:  global
        .offset:         136
        .size:           8
        .value_kind:     global_buffer
      - .offset:         144
        .size:           8
        .value_kind:     by_value
      - .offset:         152
        .size:           8
        .value_kind:     by_value
      - .offset:         160
        .size:           8
        .value_kind:     by_value
      - .offset:         168
        .size:           8
        .value_kind:     by_value
      - .offset:         176
        .size:           4
        .value_kind:     hidden_block_count_x
      - .offset:         180
        .size:           4
        .value_kind:     hidden_block_count_y
      - .offset:         184
        .size:           4
        .value_kind:     hidden_block_count_z
      - .offset:         188
        .size:           2
        .value_kind:     hidden_group_size_x
      - .offset:         190
        .size:           2
        .value_kind:     hidden_group_size_y
      - .offset:         192
        .size:           2
        .value_kind:     hidden_group_size_z
      - .offset:         194
        .size:           2
        .value_kind:     hidden_remainder_x
      - .offset:         196
        .size:           2
        .value_kind:     hidden_remainder_y
      - .offset:         198
        .size:           2
        .value_kind:     hidden_remainder_z
      - .offset:         216
        .size:           8
        .value_kind:     hidden_global_offset_x
      - .offset:         224
        .size:           8
        .value_kind:     hidden_global_offset_y
      - .offset:         232
        .size:           8
        .value_kind:     hidden_global_offset_z
      - .offset:         240
        .size:           2
        .value_kind:     hidden_grid_dims
    .group_segment_fixed_size: 0
    .kernarg_segment_align: 8
    .kernarg_segment_size: 432
    .language:       OpenCL C
    .language_version:
      - 2
      - 0
    .max_flat_workgroup_size: 1024
    .name:           _ZN9rocsolver6v33100L11gemm_kernelIdlPKdPdPKS4_S6_EEvT0_S7_S7_T1_bT2_lS7_S7_lbT3_lS7_S7_lS8_T4_lS7_S7_l
    .private_segment_fixed_size: 0
    .sgpr_count:     46
    .sgpr_spill_count: 0
    .symbol:         _ZN9rocsolver6v33100L11gemm_kernelIdlPKdPdPKS4_S6_EEvT0_S7_S7_T1_bT2_lS7_S7_lbT3_lS7_S7_lS8_T4_lS7_S7_l.kd
    .uniform_work_group_size: 1
    .uses_dynamic_stack: false
    .vgpr_count:     14
    .vgpr_spill_count: 0
    .wavefront_size: 32
  - .args:
      - .offset:         0
        .size:           8
        .value_kind:     by_value
      - .offset:         8
        .size:           8
        .value_kind:     by_value
      - .offset:         16
        .size:           8
        .value_kind:     by_value
      - .offset:         24
        .size:           8
        .value_kind:     by_value
      - .offset:         32
        .size:           1
        .value_kind:     by_value
      - .address_space:  global
        .offset:         40
        .size:           8
        .value_kind:     global_buffer
      - .offset:         48
        .size:           8
        .value_kind:     by_value
      - .offset:         56
        .size:           8
        .value_kind:     by_value
      - .offset:         64
        .size:           8
        .value_kind:     by_value
      - .offset:         72
        .size:           8
        .value_kind:     by_value
      - .offset:         80
        .size:           1
        .value_kind:     by_value
      - .address_space:  global
        .offset:         88
        .size:           8
        .value_kind:     global_buffer
      - .offset:         96
        .size:           8
        .value_kind:     by_value
      - .offset:         104
        .size:           8
        .value_kind:     by_value
      - .offset:         112
        .size:           8
        .value_kind:     by_value
      - .offset:         120
        .size:           8
        .value_kind:     by_value
      - .offset:         128
        .size:           8
        .value_kind:     by_value
      - .address_space:  global
        .offset:         136
        .size:           8
        .value_kind:     global_buffer
      - .offset:         144
        .size:           8
        .value_kind:     by_value
      - .offset:         152
        .size:           8
        .value_kind:     by_value
      - .offset:         160
        .size:           8
        .value_kind:     by_value
      - .offset:         168
        .size:           8
        .value_kind:     by_value
      - .offset:         176
        .size:           4
        .value_kind:     hidden_block_count_x
      - .offset:         180
        .size:           4
        .value_kind:     hidden_block_count_y
      - .offset:         184
        .size:           4
        .value_kind:     hidden_block_count_z
      - .offset:         188
        .size:           2
        .value_kind:     hidden_group_size_x
      - .offset:         190
        .size:           2
        .value_kind:     hidden_group_size_y
      - .offset:         192
        .size:           2
        .value_kind:     hidden_group_size_z
      - .offset:         194
        .size:           2
        .value_kind:     hidden_remainder_x
      - .offset:         196
        .size:           2
        .value_kind:     hidden_remainder_y
      - .offset:         198
        .size:           2
        .value_kind:     hidden_remainder_z
      - .offset:         216
        .size:           8
        .value_kind:     hidden_global_offset_x
      - .offset:         224
        .size:           8
        .value_kind:     hidden_global_offset_y
      - .offset:         232
        .size:           8
        .value_kind:     hidden_global_offset_z
      - .offset:         240
        .size:           2
        .value_kind:     hidden_grid_dims
    .group_segment_fixed_size: 0
    .kernarg_segment_align: 8
    .kernarg_segment_size: 432
    .language:       OpenCL C
    .language_version:
      - 2
      - 0
    .max_flat_workgroup_size: 1024
    .name:           _ZN9rocsolver6v33100L11gemm_kernelIdldPdPKS2_S4_EEvT0_S5_S5_T1_bT2_lS5_S5_lbT3_lS5_S5_lS6_T4_lS5_S5_l
    .private_segment_fixed_size: 0
    .sgpr_count:     46
    .sgpr_spill_count: 0
    .symbol:         _ZN9rocsolver6v33100L11gemm_kernelIdldPdPKS2_S4_EEvT0_S5_S5_T1_bT2_lS5_S5_lbT3_lS5_S5_lS6_T4_lS5_S5_l.kd
    .uniform_work_group_size: 1
    .uses_dynamic_stack: false
    .vgpr_count:     14
    .vgpr_spill_count: 0
    .wavefront_size: 32
  - .args:
      - .offset:         0
        .size:           4
        .value_kind:     by_value
      - .offset:         4
        .size:           4
        .value_kind:     by_value
      - .offset:         8
        .size:           8
        .value_kind:     by_value
      - .offset:         16
        .size:           8
        .value_kind:     by_value
      - .offset:         24
        .size:           8
        .value_kind:     by_value
      - .address_space:  global
        .offset:         32
        .size:           8
        .value_kind:     global_buffer
      - .address_space:  global
        .offset:         40
        .size:           8
        .value_kind:     global_buffer
      - .offset:         48
        .size:           8
        .value_kind:     by_value
      - .offset:         56
        .size:           8
        .value_kind:     by_value
      - .offset:         64
        .size:           8
        .value_kind:     by_value
      - .offset:         72
        .size:           8
        .value_kind:     by_value
      - .address_space:  global
        .offset:         80
        .size:           8
        .value_kind:     global_buffer
      - .offset:         88
        .size:           8
        .value_kind:     by_value
      - .offset:         96
        .size:           8
        .value_kind:     by_value
      - .offset:         104
        .size:           8
        .value_kind:     by_value
      - .offset:         112
        .size:           8
        .value_kind:     by_value
      - .address_space:  global
        .offset:         120
        .size:           8
        .value_kind:     global_buffer
      - .address_space:  global
        .offset:         128
        .size:           8
        .value_kind:     global_buffer
      - .offset:         136
        .size:           8
        .value_kind:     by_value
      - .offset:         144
        .size:           8
        .value_kind:     by_value
      - .offset:         152
        .size:           8
        .value_kind:     by_value
      - .offset:         160
        .size:           8
        .value_kind:     by_value
    .group_segment_fixed_size: 0
    .kernarg_segment_align: 8
    .kernarg_segment_size: 168
    .language:       OpenCL C
    .language_version:
      - 2
      - 0
    .max_flat_workgroup_size: 1024
    .name:           _ZN9rocsolver6v33100L16mfma_gemm_kernelIdlPKdPKPdS4_S6_EEv18rocblas_operation_S7_T0_S8_S8_T1_T2_lS8_S8_lT3_lS8_S8_lS9_T4_lS8_S8_l
    .private_segment_fixed_size: 0
    .sgpr_count:     0
    .sgpr_spill_count: 0
    .symbol:         _ZN9rocsolver6v33100L16mfma_gemm_kernelIdlPKdPKPdS4_S6_EEv18rocblas_operation_S7_T0_S8_S8_T1_T2_lS8_S8_lT3_lS8_S8_lS9_T4_lS8_S8_l.kd
    .uniform_work_group_size: 1
    .uses_dynamic_stack: false
    .vgpr_count:     0
    .vgpr_spill_count: 0
    .wavefront_size: 32
  - .args:
      - .offset:         0
        .size:           4
        .value_kind:     by_value
      - .offset:         4
        .size:           4
        .value_kind:     by_value
      - .offset:         8
        .size:           8
        .value_kind:     by_value
      - .offset:         16
        .size:           8
        .value_kind:     by_value
      - .offset:         24
        .size:           8
        .value_kind:     by_value
      - .offset:         32
        .size:           8
        .value_kind:     by_value
      - .address_space:  global
        .offset:         40
        .size:           8
        .value_kind:     global_buffer
      - .offset:         48
        .size:           8
        .value_kind:     by_value
      - .offset:         56
        .size:           8
        .value_kind:     by_value
      - .offset:         64
        .size:           8
        .value_kind:     by_value
      - .offset:         72
        .size:           8
        .value_kind:     by_value
      - .address_space:  global
        .offset:         80
        .size:           8
        .value_kind:     global_buffer
      - .offset:         88
        .size:           8
        .value_kind:     by_value
      - .offset:         96
        .size:           8
        .value_kind:     by_value
      - .offset:         104
        .size:           8
        .value_kind:     by_value
      - .offset:         112
        .size:           8
        .value_kind:     by_value
      - .offset:         120
        .size:           8
        .value_kind:     by_value
      - .address_space:  global
        .offset:         128
        .size:           8
        .value_kind:     global_buffer
      - .offset:         136
        .size:           8
        .value_kind:     by_value
      - .offset:         144
        .size:           8
        .value_kind:     by_value
      - .offset:         152
        .size:           8
        .value_kind:     by_value
      - .offset:         160
        .size:           8
        .value_kind:     by_value
    .group_segment_fixed_size: 0
    .kernarg_segment_align: 8
    .kernarg_segment_size: 168
    .language:       OpenCL C
    .language_version:
      - 2
      - 0
    .max_flat_workgroup_size: 1024
    .name:           _ZN9rocsolver6v33100L16mfma_gemm_kernelIdldPKPdS2_S4_EEv18rocblas_operation_S5_T0_S6_S6_T1_T2_lS6_S6_lT3_lS6_S6_lS7_T4_lS6_S6_l
    .private_segment_fixed_size: 0
    .sgpr_count:     0
    .sgpr_spill_count: 0
    .symbol:         _ZN9rocsolver6v33100L16mfma_gemm_kernelIdldPKPdS2_S4_EEv18rocblas_operation_S5_T0_S6_S6_T1_T2_lS6_S6_lT3_lS6_S6_lS7_T4_lS6_S6_l.kd
    .uniform_work_group_size: 1
    .uses_dynamic_stack: false
    .vgpr_count:     0
    .vgpr_spill_count: 0
    .wavefront_size: 32
  - .args:
      - .offset:         0
        .size:           8
        .value_kind:     by_value
      - .offset:         8
        .size:           8
        .value_kind:     by_value
      - .offset:         16
        .size:           8
        .value_kind:     by_value
      - .address_space:  global
        .offset:         24
        .size:           8
        .value_kind:     global_buffer
      - .offset:         32
        .size:           1
        .value_kind:     by_value
      - .address_space:  global
        .offset:         40
        .size:           8
        .value_kind:     global_buffer
      - .offset:         48
        .size:           8
        .value_kind:     by_value
      - .offset:         56
        .size:           8
        .value_kind:     by_value
      - .offset:         64
        .size:           8
        .value_kind:     by_value
      - .offset:         72
        .size:           8
        .value_kind:     by_value
      - .offset:         80
        .size:           1
        .value_kind:     by_value
      - .address_space:  global
        .offset:         88
        .size:           8
        .value_kind:     global_buffer
      - .offset:         96
        .size:           8
        .value_kind:     by_value
      - .offset:         104
        .size:           8
        .value_kind:     by_value
      - .offset:         112
        .size:           8
        .value_kind:     by_value
      - .offset:         120
        .size:           8
        .value_kind:     by_value
      - .address_space:  global
        .offset:         128
        .size:           8
        .value_kind:     global_buffer
      - .address_space:  global
        .offset:         136
        .size:           8
        .value_kind:     global_buffer
      - .offset:         144
        .size:           8
        .value_kind:     by_value
      - .offset:         152
        .size:           8
        .value_kind:     by_value
      - .offset:         160
        .size:           8
        .value_kind:     by_value
      - .offset:         168
        .size:           8
        .value_kind:     by_value
      - .offset:         176
        .size:           4
        .value_kind:     hidden_block_count_x
      - .offset:         180
        .size:           4
        .value_kind:     hidden_block_count_y
      - .offset:         184
        .size:           4
        .value_kind:     hidden_block_count_z
      - .offset:         188
        .size:           2
        .value_kind:     hidden_group_size_x
      - .offset:         190
        .size:           2
        .value_kind:     hidden_group_size_y
      - .offset:         192
        .size:           2
        .value_kind:     hidden_group_size_z
      - .offset:         194
        .size:           2
        .value_kind:     hidden_remainder_x
      - .offset:         196
        .size:           2
        .value_kind:     hidden_remainder_y
      - .offset:         198
        .size:           2
        .value_kind:     hidden_remainder_z
      - .offset:         216
        .size:           8
        .value_kind:     hidden_global_offset_x
      - .offset:         224
        .size:           8
        .value_kind:     hidden_global_offset_y
      - .offset:         232
        .size:           8
        .value_kind:     hidden_global_offset_z
      - .offset:         240
        .size:           2
        .value_kind:     hidden_grid_dims
    .group_segment_fixed_size: 0
    .kernarg_segment_align: 8
    .kernarg_segment_size: 432
    .language:       OpenCL C
    .language_version:
      - 2
      - 0
    .max_flat_workgroup_size: 1024
    .name:           _ZN9rocsolver6v33100L11gemm_kernelIdlPKdPKPdS4_S6_EEvT0_S7_S7_T1_bT2_lS7_S7_lbT3_lS7_S7_lS8_T4_lS7_S7_l
    .private_segment_fixed_size: 0
    .sgpr_count:     34
    .sgpr_spill_count: 0
    .symbol:         _ZN9rocsolver6v33100L11gemm_kernelIdlPKdPKPdS4_S6_EEvT0_S7_S7_T1_bT2_lS7_S7_lbT3_lS7_S7_lS8_T4_lS7_S7_l.kd
    .uniform_work_group_size: 1
    .uses_dynamic_stack: false
    .vgpr_count:     14
    .vgpr_spill_count: 0
    .wavefront_size: 32
  - .args:
      - .offset:         0
        .size:           8
        .value_kind:     by_value
      - .offset:         8
        .size:           8
        .value_kind:     by_value
      - .offset:         16
        .size:           8
        .value_kind:     by_value
      - .offset:         24
        .size:           8
        .value_kind:     by_value
      - .offset:         32
        .size:           1
        .value_kind:     by_value
      - .address_space:  global
        .offset:         40
        .size:           8
        .value_kind:     global_buffer
      - .offset:         48
        .size:           8
        .value_kind:     by_value
      - .offset:         56
        .size:           8
        .value_kind:     by_value
      - .offset:         64
        .size:           8
        .value_kind:     by_value
      - .offset:         72
        .size:           8
        .value_kind:     by_value
      - .offset:         80
        .size:           1
        .value_kind:     by_value
      - .address_space:  global
        .offset:         88
        .size:           8
        .value_kind:     global_buffer
      - .offset:         96
        .size:           8
        .value_kind:     by_value
      - .offset:         104
        .size:           8
        .value_kind:     by_value
      - .offset:         112
        .size:           8
        .value_kind:     by_value
      - .offset:         120
        .size:           8
        .value_kind:     by_value
      - .offset:         128
        .size:           8
        .value_kind:     by_value
      - .address_space:  global
        .offset:         136
        .size:           8
        .value_kind:     global_buffer
      - .offset:         144
        .size:           8
        .value_kind:     by_value
      - .offset:         152
        .size:           8
        .value_kind:     by_value
      - .offset:         160
        .size:           8
        .value_kind:     by_value
      - .offset:         168
        .size:           8
        .value_kind:     by_value
      - .offset:         176
        .size:           4
        .value_kind:     hidden_block_count_x
      - .offset:         180
        .size:           4
        .value_kind:     hidden_block_count_y
      - .offset:         184
        .size:           4
        .value_kind:     hidden_block_count_z
      - .offset:         188
        .size:           2
        .value_kind:     hidden_group_size_x
      - .offset:         190
        .size:           2
        .value_kind:     hidden_group_size_y
      - .offset:         192
        .size:           2
        .value_kind:     hidden_group_size_z
      - .offset:         194
        .size:           2
        .value_kind:     hidden_remainder_x
      - .offset:         196
        .size:           2
        .value_kind:     hidden_remainder_y
      - .offset:         198
        .size:           2
        .value_kind:     hidden_remainder_z
      - .offset:         216
        .size:           8
        .value_kind:     hidden_global_offset_x
      - .offset:         224
        .size:           8
        .value_kind:     hidden_global_offset_y
      - .offset:         232
        .size:           8
        .value_kind:     hidden_global_offset_z
      - .offset:         240
        .size:           2
        .value_kind:     hidden_grid_dims
    .group_segment_fixed_size: 0
    .kernarg_segment_align: 8
    .kernarg_segment_size: 432
    .language:       OpenCL C
    .language_version:
      - 2
      - 0
    .max_flat_workgroup_size: 1024
    .name:           _ZN9rocsolver6v33100L11gemm_kernelIdldPKPdS2_S4_EEvT0_S5_S5_T1_bT2_lS5_S5_lbT3_lS5_S5_lS6_T4_lS5_S5_l
    .private_segment_fixed_size: 0
    .sgpr_count:     34
    .sgpr_spill_count: 0
    .symbol:         _ZN9rocsolver6v33100L11gemm_kernelIdldPKPdS2_S4_EEvT0_S5_S5_T1_bT2_lS5_S5_lbT3_lS5_S5_lS6_T4_lS5_S5_l.kd
    .uniform_work_group_size: 1
    .uses_dynamic_stack: false
    .vgpr_count:     14
    .vgpr_spill_count: 0
    .wavefront_size: 32
  - .args:
      - .offset:         0
        .size:           4
        .value_kind:     by_value
      - .offset:         4
        .size:           4
        .value_kind:     by_value
      - .offset:         8
        .size:           8
        .value_kind:     by_value
      - .offset:         16
        .size:           8
        .value_kind:     by_value
      - .offset:         24
        .size:           8
        .value_kind:     by_value
      - .address_space:  global
        .offset:         32
        .size:           8
        .value_kind:     global_buffer
      - .address_space:  global
        .offset:         40
        .size:           8
        .value_kind:     global_buffer
      - .offset:         48
        .size:           8
        .value_kind:     by_value
      - .offset:         56
        .size:           8
        .value_kind:     by_value
      - .offset:         64
        .size:           8
        .value_kind:     by_value
      - .offset:         72
        .size:           8
        .value_kind:     by_value
      - .address_space:  global
        .offset:         80
        .size:           8
        .value_kind:     global_buffer
      - .offset:         88
        .size:           8
        .value_kind:     by_value
      - .offset:         96
        .size:           8
        .value_kind:     by_value
      - .offset:         104
        .size:           8
        .value_kind:     by_value
      - .offset:         112
        .size:           8
        .value_kind:     by_value
      - .address_space:  global
        .offset:         120
        .size:           8
        .value_kind:     global_buffer
      - .address_space:  global
        .offset:         128
        .size:           8
        .value_kind:     global_buffer
      - .offset:         136
        .size:           8
        .value_kind:     by_value
      - .offset:         144
        .size:           8
        .value_kind:     by_value
      - .offset:         152
        .size:           8
        .value_kind:     by_value
      - .offset:         160
        .size:           8
        .value_kind:     by_value
    .group_segment_fixed_size: 0
    .kernarg_segment_align: 8
    .kernarg_segment_size: 168
    .language:       OpenCL C
    .language_version:
      - 2
      - 0
    .max_flat_workgroup_size: 1024
    .name:           _ZN9rocsolver6v33100L16mfma_gemm_kernelIdlPKdPKPdS6_S4_EEv18rocblas_operation_S7_T0_S8_S8_T1_T2_lS8_S8_lT3_lS8_S8_lS9_T4_lS8_S8_l
    .private_segment_fixed_size: 0
    .sgpr_count:     0
    .sgpr_spill_count: 0
    .symbol:         _ZN9rocsolver6v33100L16mfma_gemm_kernelIdlPKdPKPdS6_S4_EEv18rocblas_operation_S7_T0_S8_S8_T1_T2_lS8_S8_lT3_lS8_S8_lS9_T4_lS8_S8_l.kd
    .uniform_work_group_size: 1
    .uses_dynamic_stack: false
    .vgpr_count:     0
    .vgpr_spill_count: 0
    .wavefront_size: 32
  - .args:
      - .offset:         0
        .size:           4
        .value_kind:     by_value
      - .offset:         4
        .size:           4
        .value_kind:     by_value
      - .offset:         8
        .size:           8
        .value_kind:     by_value
      - .offset:         16
        .size:           8
        .value_kind:     by_value
      - .offset:         24
        .size:           8
        .value_kind:     by_value
      - .offset:         32
        .size:           8
        .value_kind:     by_value
      - .address_space:  global
        .offset:         40
        .size:           8
        .value_kind:     global_buffer
      - .offset:         48
        .size:           8
        .value_kind:     by_value
      - .offset:         56
        .size:           8
        .value_kind:     by_value
      - .offset:         64
        .size:           8
        .value_kind:     by_value
      - .offset:         72
        .size:           8
        .value_kind:     by_value
      - .address_space:  global
        .offset:         80
        .size:           8
        .value_kind:     global_buffer
      - .offset:         88
        .size:           8
        .value_kind:     by_value
      - .offset:         96
        .size:           8
        .value_kind:     by_value
      - .offset:         104
        .size:           8
        .value_kind:     by_value
      - .offset:         112
        .size:           8
        .value_kind:     by_value
      - .offset:         120
        .size:           8
        .value_kind:     by_value
      - .address_space:  global
        .offset:         128
        .size:           8
        .value_kind:     global_buffer
      - .offset:         136
        .size:           8
        .value_kind:     by_value
      - .offset:         144
        .size:           8
        .value_kind:     by_value
      - .offset:         152
        .size:           8
        .value_kind:     by_value
      - .offset:         160
        .size:           8
        .value_kind:     by_value
    .group_segment_fixed_size: 0
    .kernarg_segment_align: 8
    .kernarg_segment_size: 168
    .language:       OpenCL C
    .language_version:
      - 2
      - 0
    .max_flat_workgroup_size: 1024
    .name:           _ZN9rocsolver6v33100L16mfma_gemm_kernelIdldPKPdS4_S2_EEv18rocblas_operation_S5_T0_S6_S6_T1_T2_lS6_S6_lT3_lS6_S6_lS7_T4_lS6_S6_l
    .private_segment_fixed_size: 0
    .sgpr_count:     0
    .sgpr_spill_count: 0
    .symbol:         _ZN9rocsolver6v33100L16mfma_gemm_kernelIdldPKPdS4_S2_EEv18rocblas_operation_S5_T0_S6_S6_T1_T2_lS6_S6_lT3_lS6_S6_lS7_T4_lS6_S6_l.kd
    .uniform_work_group_size: 1
    .uses_dynamic_stack: false
    .vgpr_count:     0
    .vgpr_spill_count: 0
    .wavefront_size: 32
  - .args:
      - .offset:         0
        .size:           8
        .value_kind:     by_value
      - .offset:         8
        .size:           8
        .value_kind:     by_value
      - .offset:         16
        .size:           8
        .value_kind:     by_value
      - .address_space:  global
        .offset:         24
        .size:           8
        .value_kind:     global_buffer
      - .offset:         32
        .size:           1
        .value_kind:     by_value
      - .address_space:  global
        .offset:         40
        .size:           8
        .value_kind:     global_buffer
      - .offset:         48
        .size:           8
        .value_kind:     by_value
      - .offset:         56
        .size:           8
        .value_kind:     by_value
      - .offset:         64
        .size:           8
        .value_kind:     by_value
      - .offset:         72
        .size:           8
        .value_kind:     by_value
      - .offset:         80
        .size:           1
        .value_kind:     by_value
      - .address_space:  global
        .offset:         88
        .size:           8
        .value_kind:     global_buffer
      - .offset:         96
        .size:           8
        .value_kind:     by_value
      - .offset:         104
        .size:           8
        .value_kind:     by_value
      - .offset:         112
        .size:           8
        .value_kind:     by_value
      - .offset:         120
        .size:           8
        .value_kind:     by_value
      - .address_space:  global
        .offset:         128
        .size:           8
        .value_kind:     global_buffer
      - .address_space:  global
        .offset:         136
        .size:           8
        .value_kind:     global_buffer
      - .offset:         144
        .size:           8
        .value_kind:     by_value
      - .offset:         152
        .size:           8
        .value_kind:     by_value
      - .offset:         160
        .size:           8
        .value_kind:     by_value
      - .offset:         168
        .size:           8
        .value_kind:     by_value
      - .offset:         176
        .size:           4
        .value_kind:     hidden_block_count_x
      - .offset:         180
        .size:           4
        .value_kind:     hidden_block_count_y
      - .offset:         184
        .size:           4
        .value_kind:     hidden_block_count_z
      - .offset:         188
        .size:           2
        .value_kind:     hidden_group_size_x
      - .offset:         190
        .size:           2
        .value_kind:     hidden_group_size_y
      - .offset:         192
        .size:           2
        .value_kind:     hidden_group_size_z
      - .offset:         194
        .size:           2
        .value_kind:     hidden_remainder_x
      - .offset:         196
        .size:           2
        .value_kind:     hidden_remainder_y
      - .offset:         198
        .size:           2
        .value_kind:     hidden_remainder_z
      - .offset:         216
        .size:           8
        .value_kind:     hidden_global_offset_x
      - .offset:         224
        .size:           8
        .value_kind:     hidden_global_offset_y
      - .offset:         232
        .size:           8
        .value_kind:     hidden_global_offset_z
      - .offset:         240
        .size:           2
        .value_kind:     hidden_grid_dims
    .group_segment_fixed_size: 0
    .kernarg_segment_align: 8
    .kernarg_segment_size: 432
    .language:       OpenCL C
    .language_version:
      - 2
      - 0
    .max_flat_workgroup_size: 1024
    .name:           _ZN9rocsolver6v33100L11gemm_kernelIdlPKdPKPdS6_S4_EEvT0_S7_S7_T1_bT2_lS7_S7_lbT3_lS7_S7_lS8_T4_lS7_S7_l
    .private_segment_fixed_size: 0
    .sgpr_count:     46
    .sgpr_spill_count: 0
    .symbol:         _ZN9rocsolver6v33100L11gemm_kernelIdlPKdPKPdS6_S4_EEvT0_S7_S7_T1_bT2_lS7_S7_lbT3_lS7_S7_lS8_T4_lS7_S7_l.kd
    .uniform_work_group_size: 1
    .uses_dynamic_stack: false
    .vgpr_count:     14
    .vgpr_spill_count: 0
    .wavefront_size: 32
  - .args:
      - .offset:         0
        .size:           8
        .value_kind:     by_value
      - .offset:         8
        .size:           8
        .value_kind:     by_value
      - .offset:         16
        .size:           8
        .value_kind:     by_value
      - .offset:         24
        .size:           8
        .value_kind:     by_value
      - .offset:         32
        .size:           1
        .value_kind:     by_value
      - .address_space:  global
        .offset:         40
        .size:           8
        .value_kind:     global_buffer
      - .offset:         48
        .size:           8
        .value_kind:     by_value
      - .offset:         56
        .size:           8
        .value_kind:     by_value
      - .offset:         64
        .size:           8
        .value_kind:     by_value
      - .offset:         72
        .size:           8
        .value_kind:     by_value
      - .offset:         80
        .size:           1
        .value_kind:     by_value
      - .address_space:  global
        .offset:         88
        .size:           8
        .value_kind:     global_buffer
      - .offset:         96
        .size:           8
        .value_kind:     by_value
      - .offset:         104
        .size:           8
        .value_kind:     by_value
      - .offset:         112
        .size:           8
        .value_kind:     by_value
      - .offset:         120
        .size:           8
        .value_kind:     by_value
      - .offset:         128
        .size:           8
        .value_kind:     by_value
      - .address_space:  global
        .offset:         136
        .size:           8
        .value_kind:     global_buffer
      - .offset:         144
        .size:           8
        .value_kind:     by_value
      - .offset:         152
        .size:           8
        .value_kind:     by_value
      - .offset:         160
        .size:           8
        .value_kind:     by_value
      - .offset:         168
        .size:           8
        .value_kind:     by_value
      - .offset:         176
        .size:           4
        .value_kind:     hidden_block_count_x
      - .offset:         180
        .size:           4
        .value_kind:     hidden_block_count_y
      - .offset:         184
        .size:           4
        .value_kind:     hidden_block_count_z
      - .offset:         188
        .size:           2
        .value_kind:     hidden_group_size_x
      - .offset:         190
        .size:           2
        .value_kind:     hidden_group_size_y
      - .offset:         192
        .size:           2
        .value_kind:     hidden_group_size_z
      - .offset:         194
        .size:           2
        .value_kind:     hidden_remainder_x
      - .offset:         196
        .size:           2
        .value_kind:     hidden_remainder_y
      - .offset:         198
        .size:           2
        .value_kind:     hidden_remainder_z
      - .offset:         216
        .size:           8
        .value_kind:     hidden_global_offset_x
      - .offset:         224
        .size:           8
        .value_kind:     hidden_global_offset_y
      - .offset:         232
        .size:           8
        .value_kind:     hidden_global_offset_z
      - .offset:         240
        .size:           2
        .value_kind:     hidden_grid_dims
    .group_segment_fixed_size: 0
    .kernarg_segment_align: 8
    .kernarg_segment_size: 432
    .language:       OpenCL C
    .language_version:
      - 2
      - 0
    .max_flat_workgroup_size: 1024
    .name:           _ZN9rocsolver6v33100L11gemm_kernelIdldPKPdS4_S2_EEvT0_S5_S5_T1_bT2_lS5_S5_lbT3_lS5_S5_lS6_T4_lS5_S5_l
    .private_segment_fixed_size: 0
    .sgpr_count:     30
    .sgpr_spill_count: 0
    .symbol:         _ZN9rocsolver6v33100L11gemm_kernelIdldPKPdS4_S2_EEvT0_S5_S5_T1_bT2_lS5_S5_lbT3_lS5_S5_lS6_T4_lS5_S5_l.kd
    .uniform_work_group_size: 1
    .uses_dynamic_stack: false
    .vgpr_count:     14
    .vgpr_spill_count: 0
    .wavefront_size: 32
  - .args:
      - .offset:         0
        .size:           4
        .value_kind:     by_value
      - .offset:         4
        .size:           4
        .value_kind:     by_value
      - .offset:         8
        .size:           8
        .value_kind:     by_value
      - .offset:         16
        .size:           8
        .value_kind:     by_value
      - .offset:         24
        .size:           8
        .value_kind:     by_value
      - .address_space:  global
        .offset:         32
        .size:           8
        .value_kind:     global_buffer
      - .address_space:  global
        .offset:         40
        .size:           8
        .value_kind:     global_buffer
      - .offset:         48
        .size:           8
        .value_kind:     by_value
      - .offset:         56
        .size:           8
        .value_kind:     by_value
      - .offset:         64
        .size:           8
        .value_kind:     by_value
      - .offset:         72
        .size:           8
        .value_kind:     by_value
      - .address_space:  global
        .offset:         80
        .size:           8
        .value_kind:     global_buffer
      - .offset:         88
        .size:           8
        .value_kind:     by_value
      - .offset:         96
        .size:           8
        .value_kind:     by_value
      - .offset:         104
        .size:           8
        .value_kind:     by_value
      - .offset:         112
        .size:           8
        .value_kind:     by_value
      - .address_space:  global
        .offset:         120
        .size:           8
        .value_kind:     global_buffer
      - .address_space:  global
        .offset:         128
        .size:           8
        .value_kind:     global_buffer
      - .offset:         136
        .size:           8
        .value_kind:     by_value
      - .offset:         144
        .size:           8
        .value_kind:     by_value
      - .offset:         152
        .size:           8
        .value_kind:     by_value
      - .offset:         160
        .size:           8
        .value_kind:     by_value
    .group_segment_fixed_size: 0
    .kernarg_segment_align: 8
    .kernarg_segment_size: 168
    .language:       OpenCL C
    .language_version:
      - 2
      - 0
    .max_flat_workgroup_size: 1024
    .name:           _ZN9rocsolver6v33100L16mfma_gemm_kernelIdlPKdPKPdS4_S4_EEv18rocblas_operation_S7_T0_S8_S8_T1_T2_lS8_S8_lT3_lS8_S8_lS9_T4_lS8_S8_l
    .private_segment_fixed_size: 0
    .sgpr_count:     0
    .sgpr_spill_count: 0
    .symbol:         _ZN9rocsolver6v33100L16mfma_gemm_kernelIdlPKdPKPdS4_S4_EEv18rocblas_operation_S7_T0_S8_S8_T1_T2_lS8_S8_lT3_lS8_S8_lS9_T4_lS8_S8_l.kd
    .uniform_work_group_size: 1
    .uses_dynamic_stack: false
    .vgpr_count:     0
    .vgpr_spill_count: 0
    .wavefront_size: 32
  - .args:
      - .offset:         0
        .size:           4
        .value_kind:     by_value
      - .offset:         4
        .size:           4
        .value_kind:     by_value
      - .offset:         8
        .size:           8
        .value_kind:     by_value
      - .offset:         16
        .size:           8
        .value_kind:     by_value
      - .offset:         24
        .size:           8
        .value_kind:     by_value
      - .offset:         32
        .size:           8
        .value_kind:     by_value
      - .address_space:  global
        .offset:         40
        .size:           8
        .value_kind:     global_buffer
      - .offset:         48
        .size:           8
        .value_kind:     by_value
      - .offset:         56
        .size:           8
        .value_kind:     by_value
      - .offset:         64
        .size:           8
        .value_kind:     by_value
      - .offset:         72
        .size:           8
        .value_kind:     by_value
      - .address_space:  global
        .offset:         80
        .size:           8
        .value_kind:     global_buffer
      - .offset:         88
        .size:           8
        .value_kind:     by_value
      - .offset:         96
        .size:           8
        .value_kind:     by_value
      - .offset:         104
        .size:           8
        .value_kind:     by_value
      - .offset:         112
        .size:           8
        .value_kind:     by_value
      - .offset:         120
        .size:           8
        .value_kind:     by_value
      - .address_space:  global
        .offset:         128
        .size:           8
        .value_kind:     global_buffer
      - .offset:         136
        .size:           8
        .value_kind:     by_value
      - .offset:         144
        .size:           8
        .value_kind:     by_value
      - .offset:         152
        .size:           8
        .value_kind:     by_value
      - .offset:         160
        .size:           8
        .value_kind:     by_value
    .group_segment_fixed_size: 0
    .kernarg_segment_align: 8
    .kernarg_segment_size: 168
    .language:       OpenCL C
    .language_version:
      - 2
      - 0
    .max_flat_workgroup_size: 1024
    .name:           _ZN9rocsolver6v33100L16mfma_gemm_kernelIdldPKPdS2_S2_EEv18rocblas_operation_S5_T0_S6_S6_T1_T2_lS6_S6_lT3_lS6_S6_lS7_T4_lS6_S6_l
    .private_segment_fixed_size: 0
    .sgpr_count:     0
    .sgpr_spill_count: 0
    .symbol:         _ZN9rocsolver6v33100L16mfma_gemm_kernelIdldPKPdS2_S2_EEv18rocblas_operation_S5_T0_S6_S6_T1_T2_lS6_S6_lT3_lS6_S6_lS7_T4_lS6_S6_l.kd
    .uniform_work_group_size: 1
    .uses_dynamic_stack: false
    .vgpr_count:     0
    .vgpr_spill_count: 0
    .wavefront_size: 32
  - .args:
      - .offset:         0
        .size:           8
        .value_kind:     by_value
      - .offset:         8
        .size:           8
        .value_kind:     by_value
      - .offset:         16
        .size:           8
        .value_kind:     by_value
      - .address_space:  global
        .offset:         24
        .size:           8
        .value_kind:     global_buffer
      - .offset:         32
        .size:           1
        .value_kind:     by_value
      - .address_space:  global
        .offset:         40
        .size:           8
        .value_kind:     global_buffer
      - .offset:         48
        .size:           8
        .value_kind:     by_value
      - .offset:         56
        .size:           8
        .value_kind:     by_value
      - .offset:         64
        .size:           8
        .value_kind:     by_value
      - .offset:         72
        .size:           8
        .value_kind:     by_value
      - .offset:         80
        .size:           1
        .value_kind:     by_value
      - .address_space:  global
        .offset:         88
        .size:           8
        .value_kind:     global_buffer
      - .offset:         96
        .size:           8
        .value_kind:     by_value
      - .offset:         104
        .size:           8
        .value_kind:     by_value
      - .offset:         112
        .size:           8
        .value_kind:     by_value
      - .offset:         120
        .size:           8
        .value_kind:     by_value
      - .address_space:  global
        .offset:         128
        .size:           8
        .value_kind:     global_buffer
      - .address_space:  global
        .offset:         136
        .size:           8
        .value_kind:     global_buffer
      - .offset:         144
        .size:           8
        .value_kind:     by_value
      - .offset:         152
        .size:           8
        .value_kind:     by_value
      - .offset:         160
        .size:           8
        .value_kind:     by_value
      - .offset:         168
        .size:           8
        .value_kind:     by_value
      - .offset:         176
        .size:           4
        .value_kind:     hidden_block_count_x
      - .offset:         180
        .size:           4
        .value_kind:     hidden_block_count_y
      - .offset:         184
        .size:           4
        .value_kind:     hidden_block_count_z
      - .offset:         188
        .size:           2
        .value_kind:     hidden_group_size_x
      - .offset:         190
        .size:           2
        .value_kind:     hidden_group_size_y
      - .offset:         192
        .size:           2
        .value_kind:     hidden_group_size_z
      - .offset:         194
        .size:           2
        .value_kind:     hidden_remainder_x
      - .offset:         196
        .size:           2
        .value_kind:     hidden_remainder_y
      - .offset:         198
        .size:           2
        .value_kind:     hidden_remainder_z
      - .offset:         216
        .size:           8
        .value_kind:     hidden_global_offset_x
      - .offset:         224
        .size:           8
        .value_kind:     hidden_global_offset_y
      - .offset:         232
        .size:           8
        .value_kind:     hidden_global_offset_z
      - .offset:         240
        .size:           2
        .value_kind:     hidden_grid_dims
    .group_segment_fixed_size: 0
    .kernarg_segment_align: 8
    .kernarg_segment_size: 432
    .language:       OpenCL C
    .language_version:
      - 2
      - 0
    .max_flat_workgroup_size: 1024
    .name:           _ZN9rocsolver6v33100L11gemm_kernelIdlPKdPKPdS4_S4_EEvT0_S7_S7_T1_bT2_lS7_S7_lbT3_lS7_S7_lS8_T4_lS7_S7_l
    .private_segment_fixed_size: 0
    .sgpr_count:     34
    .sgpr_spill_count: 0
    .symbol:         _ZN9rocsolver6v33100L11gemm_kernelIdlPKdPKPdS4_S4_EEvT0_S7_S7_T1_bT2_lS7_S7_lbT3_lS7_S7_lS8_T4_lS7_S7_l.kd
    .uniform_work_group_size: 1
    .uses_dynamic_stack: false
    .vgpr_count:     14
    .vgpr_spill_count: 0
    .wavefront_size: 32
  - .args:
      - .offset:         0
        .size:           8
        .value_kind:     by_value
      - .offset:         8
        .size:           8
        .value_kind:     by_value
      - .offset:         16
        .size:           8
        .value_kind:     by_value
      - .offset:         24
        .size:           8
        .value_kind:     by_value
      - .offset:         32
        .size:           1
        .value_kind:     by_value
      - .address_space:  global
        .offset:         40
        .size:           8
        .value_kind:     global_buffer
      - .offset:         48
        .size:           8
        .value_kind:     by_value
      - .offset:         56
        .size:           8
        .value_kind:     by_value
      - .offset:         64
        .size:           8
        .value_kind:     by_value
      - .offset:         72
        .size:           8
        .value_kind:     by_value
      - .offset:         80
        .size:           1
        .value_kind:     by_value
      - .address_space:  global
        .offset:         88
        .size:           8
        .value_kind:     global_buffer
      - .offset:         96
        .size:           8
        .value_kind:     by_value
      - .offset:         104
        .size:           8
        .value_kind:     by_value
      - .offset:         112
        .size:           8
        .value_kind:     by_value
      - .offset:         120
        .size:           8
        .value_kind:     by_value
      - .offset:         128
        .size:           8
        .value_kind:     by_value
      - .address_space:  global
        .offset:         136
        .size:           8
        .value_kind:     global_buffer
      - .offset:         144
        .size:           8
        .value_kind:     by_value
      - .offset:         152
        .size:           8
        .value_kind:     by_value
      - .offset:         160
        .size:           8
        .value_kind:     by_value
      - .offset:         168
        .size:           8
        .value_kind:     by_value
      - .offset:         176
        .size:           4
        .value_kind:     hidden_block_count_x
      - .offset:         180
        .size:           4
        .value_kind:     hidden_block_count_y
      - .offset:         184
        .size:           4
        .value_kind:     hidden_block_count_z
      - .offset:         188
        .size:           2
        .value_kind:     hidden_group_size_x
      - .offset:         190
        .size:           2
        .value_kind:     hidden_group_size_y
      - .offset:         192
        .size:           2
        .value_kind:     hidden_group_size_z
      - .offset:         194
        .size:           2
        .value_kind:     hidden_remainder_x
      - .offset:         196
        .size:           2
        .value_kind:     hidden_remainder_y
      - .offset:         198
        .size:           2
        .value_kind:     hidden_remainder_z
      - .offset:         216
        .size:           8
        .value_kind:     hidden_global_offset_x
      - .offset:         224
        .size:           8
        .value_kind:     hidden_global_offset_y
      - .offset:         232
        .size:           8
        .value_kind:     hidden_global_offset_z
      - .offset:         240
        .size:           2
        .value_kind:     hidden_grid_dims
    .group_segment_fixed_size: 0
    .kernarg_segment_align: 8
    .kernarg_segment_size: 432
    .language:       OpenCL C
    .language_version:
      - 2
      - 0
    .max_flat_workgroup_size: 1024
    .name:           _ZN9rocsolver6v33100L11gemm_kernelIdldPKPdS2_S2_EEvT0_S5_S5_T1_bT2_lS5_S5_lbT3_lS5_S5_lS6_T4_lS5_S5_l
    .private_segment_fixed_size: 0
    .sgpr_count:     34
    .sgpr_spill_count: 0
    .symbol:         _ZN9rocsolver6v33100L11gemm_kernelIdldPKPdS2_S2_EEvT0_S5_S5_T1_bT2_lS5_S5_lbT3_lS5_S5_lS6_T4_lS5_S5_l.kd
    .uniform_work_group_size: 1
    .uses_dynamic_stack: false
    .vgpr_count:     14
    .vgpr_spill_count: 0
    .wavefront_size: 32
  - .args:
      - .offset:         0
        .size:           4
        .value_kind:     by_value
      - .offset:         4
        .size:           4
        .value_kind:     by_value
      - .offset:         8
        .size:           8
        .value_kind:     by_value
      - .offset:         16
        .size:           8
        .value_kind:     by_value
      - .offset:         24
        .size:           8
        .value_kind:     by_value
      - .address_space:  global
        .offset:         32
        .size:           8
        .value_kind:     global_buffer
      - .address_space:  global
        .offset:         40
        .size:           8
        .value_kind:     global_buffer
      - .offset:         48
        .size:           8
        .value_kind:     by_value
      - .offset:         56
        .size:           8
        .value_kind:     by_value
      - .offset:         64
        .size:           8
        .value_kind:     by_value
      - .offset:         72
        .size:           8
        .value_kind:     by_value
      - .address_space:  global
        .offset:         80
        .size:           8
        .value_kind:     global_buffer
      - .offset:         88
        .size:           8
        .value_kind:     by_value
      - .offset:         96
        .size:           8
        .value_kind:     by_value
      - .offset:         104
        .size:           8
        .value_kind:     by_value
      - .offset:         112
        .size:           8
        .value_kind:     by_value
      - .address_space:  global
        .offset:         120
        .size:           8
        .value_kind:     global_buffer
      - .address_space:  global
        .offset:         128
        .size:           8
        .value_kind:     global_buffer
      - .offset:         136
        .size:           8
        .value_kind:     by_value
      - .offset:         144
        .size:           8
        .value_kind:     by_value
      - .offset:         152
        .size:           8
        .value_kind:     by_value
      - .offset:         160
        .size:           8
        .value_kind:     by_value
    .group_segment_fixed_size: 0
    .kernarg_segment_align: 8
    .kernarg_segment_size: 168
    .language:       OpenCL C
    .language_version:
      - 2
      - 0
    .max_flat_workgroup_size: 1024
    .name:           _ZN9rocsolver6v33100L16mfma_gemm_kernelIdlPKdPdPKS4_S4_EEv18rocblas_operation_S7_T0_S8_S8_T1_T2_lS8_S8_lT3_lS8_S8_lS9_T4_lS8_S8_l
    .private_segment_fixed_size: 0
    .sgpr_count:     0
    .sgpr_spill_count: 0
    .symbol:         _ZN9rocsolver6v33100L16mfma_gemm_kernelIdlPKdPdPKS4_S4_EEv18rocblas_operation_S7_T0_S8_S8_T1_T2_lS8_S8_lT3_lS8_S8_lS9_T4_lS8_S8_l.kd
    .uniform_work_group_size: 1
    .uses_dynamic_stack: false
    .vgpr_count:     0
    .vgpr_spill_count: 0
    .wavefront_size: 32
  - .args:
      - .offset:         0
        .size:           4
        .value_kind:     by_value
      - .offset:         4
        .size:           4
        .value_kind:     by_value
      - .offset:         8
        .size:           8
        .value_kind:     by_value
      - .offset:         16
        .size:           8
        .value_kind:     by_value
      - .offset:         24
        .size:           8
        .value_kind:     by_value
      - .offset:         32
        .size:           8
        .value_kind:     by_value
      - .address_space:  global
        .offset:         40
        .size:           8
        .value_kind:     global_buffer
      - .offset:         48
        .size:           8
        .value_kind:     by_value
      - .offset:         56
        .size:           8
        .value_kind:     by_value
      - .offset:         64
        .size:           8
        .value_kind:     by_value
      - .offset:         72
        .size:           8
        .value_kind:     by_value
      - .address_space:  global
        .offset:         80
        .size:           8
        .value_kind:     global_buffer
      - .offset:         88
        .size:           8
        .value_kind:     by_value
      - .offset:         96
        .size:           8
        .value_kind:     by_value
      - .offset:         104
        .size:           8
        .value_kind:     by_value
      - .offset:         112
        .size:           8
        .value_kind:     by_value
      - .offset:         120
        .size:           8
        .value_kind:     by_value
      - .address_space:  global
        .offset:         128
        .size:           8
        .value_kind:     global_buffer
      - .offset:         136
        .size:           8
        .value_kind:     by_value
      - .offset:         144
        .size:           8
        .value_kind:     by_value
      - .offset:         152
        .size:           8
        .value_kind:     by_value
      - .offset:         160
        .size:           8
        .value_kind:     by_value
    .group_segment_fixed_size: 0
    .kernarg_segment_align: 8
    .kernarg_segment_size: 168
    .language:       OpenCL C
    .language_version:
      - 2
      - 0
    .max_flat_workgroup_size: 1024
    .name:           _ZN9rocsolver6v33100L16mfma_gemm_kernelIdldPdPKS2_S2_EEv18rocblas_operation_S5_T0_S6_S6_T1_T2_lS6_S6_lT3_lS6_S6_lS7_T4_lS6_S6_l
    .private_segment_fixed_size: 0
    .sgpr_count:     0
    .sgpr_spill_count: 0
    .symbol:         _ZN9rocsolver6v33100L16mfma_gemm_kernelIdldPdPKS2_S2_EEv18rocblas_operation_S5_T0_S6_S6_T1_T2_lS6_S6_lT3_lS6_S6_lS7_T4_lS6_S6_l.kd
    .uniform_work_group_size: 1
    .uses_dynamic_stack: false
    .vgpr_count:     0
    .vgpr_spill_count: 0
    .wavefront_size: 32
  - .args:
      - .offset:         0
        .size:           8
        .value_kind:     by_value
      - .offset:         8
        .size:           8
        .value_kind:     by_value
      - .offset:         16
        .size:           8
        .value_kind:     by_value
      - .address_space:  global
        .offset:         24
        .size:           8
        .value_kind:     global_buffer
      - .offset:         32
        .size:           1
        .value_kind:     by_value
      - .address_space:  global
        .offset:         40
        .size:           8
        .value_kind:     global_buffer
      - .offset:         48
        .size:           8
        .value_kind:     by_value
      - .offset:         56
        .size:           8
        .value_kind:     by_value
      - .offset:         64
        .size:           8
        .value_kind:     by_value
      - .offset:         72
        .size:           8
        .value_kind:     by_value
      - .offset:         80
        .size:           1
        .value_kind:     by_value
      - .address_space:  global
        .offset:         88
        .size:           8
        .value_kind:     global_buffer
      - .offset:         96
        .size:           8
        .value_kind:     by_value
      - .offset:         104
        .size:           8
        .value_kind:     by_value
      - .offset:         112
        .size:           8
        .value_kind:     by_value
      - .offset:         120
        .size:           8
        .value_kind:     by_value
      - .address_space:  global
        .offset:         128
        .size:           8
        .value_kind:     global_buffer
      - .address_space:  global
        .offset:         136
        .size:           8
        .value_kind:     global_buffer
      - .offset:         144
        .size:           8
        .value_kind:     by_value
      - .offset:         152
        .size:           8
        .value_kind:     by_value
      - .offset:         160
        .size:           8
        .value_kind:     by_value
      - .offset:         168
        .size:           8
        .value_kind:     by_value
      - .offset:         176
        .size:           4
        .value_kind:     hidden_block_count_x
      - .offset:         180
        .size:           4
        .value_kind:     hidden_block_count_y
      - .offset:         184
        .size:           4
        .value_kind:     hidden_block_count_z
      - .offset:         188
        .size:           2
        .value_kind:     hidden_group_size_x
      - .offset:         190
        .size:           2
        .value_kind:     hidden_group_size_y
      - .offset:         192
        .size:           2
        .value_kind:     hidden_group_size_z
      - .offset:         194
        .size:           2
        .value_kind:     hidden_remainder_x
      - .offset:         196
        .size:           2
        .value_kind:     hidden_remainder_y
      - .offset:         198
        .size:           2
        .value_kind:     hidden_remainder_z
      - .offset:         216
        .size:           8
        .value_kind:     hidden_global_offset_x
      - .offset:         224
        .size:           8
        .value_kind:     hidden_global_offset_y
      - .offset:         232
        .size:           8
        .value_kind:     hidden_global_offset_z
      - .offset:         240
        .size:           2
        .value_kind:     hidden_grid_dims
    .group_segment_fixed_size: 0
    .kernarg_segment_align: 8
    .kernarg_segment_size: 432
    .language:       OpenCL C
    .language_version:
      - 2
      - 0
    .max_flat_workgroup_size: 1024
    .name:           _ZN9rocsolver6v33100L11gemm_kernelIdlPKdPdPKS4_S4_EEvT0_S7_S7_T1_bT2_lS7_S7_lbT3_lS7_S7_lS8_T4_lS7_S7_l
    .private_segment_fixed_size: 0
    .sgpr_count:     46
    .sgpr_spill_count: 0
    .symbol:         _ZN9rocsolver6v33100L11gemm_kernelIdlPKdPdPKS4_S4_EEvT0_S7_S7_T1_bT2_lS7_S7_lbT3_lS7_S7_lS8_T4_lS7_S7_l.kd
    .uniform_work_group_size: 1
    .uses_dynamic_stack: false
    .vgpr_count:     14
    .vgpr_spill_count: 0
    .wavefront_size: 32
  - .args:
      - .offset:         0
        .size:           8
        .value_kind:     by_value
      - .offset:         8
        .size:           8
        .value_kind:     by_value
      - .offset:         16
        .size:           8
        .value_kind:     by_value
      - .offset:         24
        .size:           8
        .value_kind:     by_value
      - .offset:         32
        .size:           1
        .value_kind:     by_value
      - .address_space:  global
        .offset:         40
        .size:           8
        .value_kind:     global_buffer
      - .offset:         48
        .size:           8
        .value_kind:     by_value
      - .offset:         56
        .size:           8
        .value_kind:     by_value
      - .offset:         64
        .size:           8
        .value_kind:     by_value
      - .offset:         72
        .size:           8
        .value_kind:     by_value
      - .offset:         80
        .size:           1
        .value_kind:     by_value
      - .address_space:  global
        .offset:         88
        .size:           8
        .value_kind:     global_buffer
      - .offset:         96
        .size:           8
        .value_kind:     by_value
      - .offset:         104
        .size:           8
        .value_kind:     by_value
      - .offset:         112
        .size:           8
        .value_kind:     by_value
      - .offset:         120
        .size:           8
        .value_kind:     by_value
      - .offset:         128
        .size:           8
        .value_kind:     by_value
      - .address_space:  global
        .offset:         136
        .size:           8
        .value_kind:     global_buffer
      - .offset:         144
        .size:           8
        .value_kind:     by_value
      - .offset:         152
        .size:           8
        .value_kind:     by_value
      - .offset:         160
        .size:           8
        .value_kind:     by_value
      - .offset:         168
        .size:           8
        .value_kind:     by_value
      - .offset:         176
        .size:           4
        .value_kind:     hidden_block_count_x
      - .offset:         180
        .size:           4
        .value_kind:     hidden_block_count_y
      - .offset:         184
        .size:           4
        .value_kind:     hidden_block_count_z
      - .offset:         188
        .size:           2
        .value_kind:     hidden_group_size_x
      - .offset:         190
        .size:           2
        .value_kind:     hidden_group_size_y
      - .offset:         192
        .size:           2
        .value_kind:     hidden_group_size_z
      - .offset:         194
        .size:           2
        .value_kind:     hidden_remainder_x
      - .offset:         196
        .size:           2
        .value_kind:     hidden_remainder_y
      - .offset:         198
        .size:           2
        .value_kind:     hidden_remainder_z
      - .offset:         216
        .size:           8
        .value_kind:     hidden_global_offset_x
      - .offset:         224
        .size:           8
        .value_kind:     hidden_global_offset_y
      - .offset:         232
        .size:           8
        .value_kind:     hidden_global_offset_z
      - .offset:         240
        .size:           2
        .value_kind:     hidden_grid_dims
    .group_segment_fixed_size: 0
    .kernarg_segment_align: 8
    .kernarg_segment_size: 432
    .language:       OpenCL C
    .language_version:
      - 2
      - 0
    .max_flat_workgroup_size: 1024
    .name:           _ZN9rocsolver6v33100L11gemm_kernelIdldPdPKS2_S2_EEvT0_S5_S5_T1_bT2_lS5_S5_lbT3_lS5_S5_lS6_T4_lS5_S5_l
    .private_segment_fixed_size: 0
    .sgpr_count:     30
    .sgpr_spill_count: 0
    .symbol:         _ZN9rocsolver6v33100L11gemm_kernelIdldPdPKS2_S2_EEvT0_S5_S5_T1_bT2_lS5_S5_lbT3_lS5_S5_lS6_T4_lS5_S5_l.kd
    .uniform_work_group_size: 1
    .uses_dynamic_stack: false
    .vgpr_count:     14
    .vgpr_spill_count: 0
    .wavefront_size: 32
  - .args:
      - .offset:         0
        .size:           4
        .value_kind:     by_value
      - .offset:         4
        .size:           4
        .value_kind:     by_value
      - .offset:         8
        .size:           8
        .value_kind:     by_value
      - .offset:         16
        .size:           8
        .value_kind:     by_value
      - .offset:         24
        .size:           8
        .value_kind:     by_value
      - .address_space:  global
        .offset:         32
        .size:           8
        .value_kind:     global_buffer
      - .address_space:  global
        .offset:         40
        .size:           8
        .value_kind:     global_buffer
      - .offset:         48
        .size:           8
        .value_kind:     by_value
      - .offset:         56
        .size:           8
        .value_kind:     by_value
      - .offset:         64
        .size:           8
        .value_kind:     by_value
      - .offset:         72
        .size:           8
        .value_kind:     by_value
      - .address_space:  global
        .offset:         80
        .size:           8
        .value_kind:     global_buffer
      - .offset:         88
        .size:           8
        .value_kind:     by_value
      - .offset:         96
        .size:           8
        .value_kind:     by_value
      - .offset:         104
        .size:           8
        .value_kind:     by_value
      - .offset:         112
        .size:           8
        .value_kind:     by_value
      - .address_space:  global
        .offset:         120
        .size:           8
        .value_kind:     global_buffer
      - .address_space:  global
        .offset:         128
        .size:           8
        .value_kind:     global_buffer
      - .offset:         136
        .size:           8
        .value_kind:     by_value
      - .offset:         144
        .size:           8
        .value_kind:     by_value
      - .offset:         152
        .size:           8
        .value_kind:     by_value
      - .offset:         160
        .size:           8
        .value_kind:     by_value
    .group_segment_fixed_size: 0
    .kernarg_segment_align: 8
    .kernarg_segment_size: 168
    .language:       OpenCL C
    .language_version:
      - 2
      - 0
    .max_flat_workgroup_size: 1024
    .name:           _ZN9rocsolver6v33100L16mfma_gemm_kernelIdlPKdPdS4_PKS4_EEv18rocblas_operation_S7_T0_S8_S8_T1_T2_lS8_S8_lT3_lS8_S8_lS9_T4_lS8_S8_l
    .private_segment_fixed_size: 0
    .sgpr_count:     0
    .sgpr_spill_count: 0
    .symbol:         _ZN9rocsolver6v33100L16mfma_gemm_kernelIdlPKdPdS4_PKS4_EEv18rocblas_operation_S7_T0_S8_S8_T1_T2_lS8_S8_lT3_lS8_S8_lS9_T4_lS8_S8_l.kd
    .uniform_work_group_size: 1
    .uses_dynamic_stack: false
    .vgpr_count:     0
    .vgpr_spill_count: 0
    .wavefront_size: 32
  - .args:
      - .offset:         0
        .size:           4
        .value_kind:     by_value
      - .offset:         4
        .size:           4
        .value_kind:     by_value
      - .offset:         8
        .size:           8
        .value_kind:     by_value
      - .offset:         16
        .size:           8
        .value_kind:     by_value
      - .offset:         24
        .size:           8
        .value_kind:     by_value
      - .offset:         32
        .size:           8
        .value_kind:     by_value
      - .address_space:  global
        .offset:         40
        .size:           8
        .value_kind:     global_buffer
      - .offset:         48
        .size:           8
        .value_kind:     by_value
      - .offset:         56
        .size:           8
        .value_kind:     by_value
      - .offset:         64
        .size:           8
        .value_kind:     by_value
      - .offset:         72
        .size:           8
        .value_kind:     by_value
      - .address_space:  global
        .offset:         80
        .size:           8
        .value_kind:     global_buffer
      - .offset:         88
        .size:           8
        .value_kind:     by_value
      - .offset:         96
        .size:           8
        .value_kind:     by_value
      - .offset:         104
        .size:           8
        .value_kind:     by_value
      - .offset:         112
        .size:           8
        .value_kind:     by_value
      - .offset:         120
        .size:           8
        .value_kind:     by_value
      - .address_space:  global
        .offset:         128
        .size:           8
        .value_kind:     global_buffer
      - .offset:         136
        .size:           8
        .value_kind:     by_value
      - .offset:         144
        .size:           8
        .value_kind:     by_value
      - .offset:         152
        .size:           8
        .value_kind:     by_value
      - .offset:         160
        .size:           8
        .value_kind:     by_value
    .group_segment_fixed_size: 0
    .kernarg_segment_align: 8
    .kernarg_segment_size: 168
    .language:       OpenCL C
    .language_version:
      - 2
      - 0
    .max_flat_workgroup_size: 1024
    .name:           _ZN9rocsolver6v33100L16mfma_gemm_kernelIdldPdS2_PKS2_EEv18rocblas_operation_S5_T0_S6_S6_T1_T2_lS6_S6_lT3_lS6_S6_lS7_T4_lS6_S6_l
    .private_segment_fixed_size: 0
    .sgpr_count:     0
    .sgpr_spill_count: 0
    .symbol:         _ZN9rocsolver6v33100L16mfma_gemm_kernelIdldPdS2_PKS2_EEv18rocblas_operation_S5_T0_S6_S6_T1_T2_lS6_S6_lT3_lS6_S6_lS7_T4_lS6_S6_l.kd
    .uniform_work_group_size: 1
    .uses_dynamic_stack: false
    .vgpr_count:     0
    .vgpr_spill_count: 0
    .wavefront_size: 32
  - .args:
      - .offset:         0
        .size:           8
        .value_kind:     by_value
      - .offset:         8
        .size:           8
        .value_kind:     by_value
      - .offset:         16
        .size:           8
        .value_kind:     by_value
      - .address_space:  global
        .offset:         24
        .size:           8
        .value_kind:     global_buffer
      - .offset:         32
        .size:           1
        .value_kind:     by_value
      - .address_space:  global
        .offset:         40
        .size:           8
        .value_kind:     global_buffer
      - .offset:         48
        .size:           8
        .value_kind:     by_value
      - .offset:         56
        .size:           8
        .value_kind:     by_value
      - .offset:         64
        .size:           8
        .value_kind:     by_value
      - .offset:         72
        .size:           8
        .value_kind:     by_value
      - .offset:         80
        .size:           1
        .value_kind:     by_value
      - .address_space:  global
        .offset:         88
        .size:           8
        .value_kind:     global_buffer
      - .offset:         96
        .size:           8
        .value_kind:     by_value
      - .offset:         104
        .size:           8
        .value_kind:     by_value
      - .offset:         112
        .size:           8
        .value_kind:     by_value
      - .offset:         120
        .size:           8
        .value_kind:     by_value
      - .address_space:  global
        .offset:         128
        .size:           8
        .value_kind:     global_buffer
      - .address_space:  global
        .offset:         136
        .size:           8
        .value_kind:     global_buffer
      - .offset:         144
        .size:           8
        .value_kind:     by_value
      - .offset:         152
        .size:           8
        .value_kind:     by_value
      - .offset:         160
        .size:           8
        .value_kind:     by_value
      - .offset:         168
        .size:           8
        .value_kind:     by_value
      - .offset:         176
        .size:           4
        .value_kind:     hidden_block_count_x
      - .offset:         180
        .size:           4
        .value_kind:     hidden_block_count_y
      - .offset:         184
        .size:           4
        .value_kind:     hidden_block_count_z
      - .offset:         188
        .size:           2
        .value_kind:     hidden_group_size_x
      - .offset:         190
        .size:           2
        .value_kind:     hidden_group_size_y
      - .offset:         192
        .size:           2
        .value_kind:     hidden_group_size_z
      - .offset:         194
        .size:           2
        .value_kind:     hidden_remainder_x
      - .offset:         196
        .size:           2
        .value_kind:     hidden_remainder_y
      - .offset:         198
        .size:           2
        .value_kind:     hidden_remainder_z
      - .offset:         216
        .size:           8
        .value_kind:     hidden_global_offset_x
      - .offset:         224
        .size:           8
        .value_kind:     hidden_global_offset_y
      - .offset:         232
        .size:           8
        .value_kind:     hidden_global_offset_z
      - .offset:         240
        .size:           2
        .value_kind:     hidden_grid_dims
    .group_segment_fixed_size: 0
    .kernarg_segment_align: 8
    .kernarg_segment_size: 432
    .language:       OpenCL C
    .language_version:
      - 2
      - 0
    .max_flat_workgroup_size: 1024
    .name:           _ZN9rocsolver6v33100L11gemm_kernelIdlPKdPdS4_PKS4_EEvT0_S7_S7_T1_bT2_lS7_S7_lbT3_lS7_S7_lS8_T4_lS7_S7_l
    .private_segment_fixed_size: 0
    .sgpr_count:     34
    .sgpr_spill_count: 0
    .symbol:         _ZN9rocsolver6v33100L11gemm_kernelIdlPKdPdS4_PKS4_EEvT0_S7_S7_T1_bT2_lS7_S7_lbT3_lS7_S7_lS8_T4_lS7_S7_l.kd
    .uniform_work_group_size: 1
    .uses_dynamic_stack: false
    .vgpr_count:     14
    .vgpr_spill_count: 0
    .wavefront_size: 32
  - .args:
      - .offset:         0
        .size:           8
        .value_kind:     by_value
      - .offset:         8
        .size:           8
        .value_kind:     by_value
      - .offset:         16
        .size:           8
        .value_kind:     by_value
      - .offset:         24
        .size:           8
        .value_kind:     by_value
      - .offset:         32
        .size:           1
        .value_kind:     by_value
      - .address_space:  global
        .offset:         40
        .size:           8
        .value_kind:     global_buffer
      - .offset:         48
        .size:           8
        .value_kind:     by_value
      - .offset:         56
        .size:           8
        .value_kind:     by_value
      - .offset:         64
        .size:           8
        .value_kind:     by_value
      - .offset:         72
        .size:           8
        .value_kind:     by_value
      - .offset:         80
        .size:           1
        .value_kind:     by_value
      - .address_space:  global
        .offset:         88
        .size:           8
        .value_kind:     global_buffer
      - .offset:         96
        .size:           8
        .value_kind:     by_value
      - .offset:         104
        .size:           8
        .value_kind:     by_value
      - .offset:         112
        .size:           8
        .value_kind:     by_value
      - .offset:         120
        .size:           8
        .value_kind:     by_value
      - .offset:         128
        .size:           8
        .value_kind:     by_value
      - .address_space:  global
        .offset:         136
        .size:           8
        .value_kind:     global_buffer
      - .offset:         144
        .size:           8
        .value_kind:     by_value
      - .offset:         152
        .size:           8
        .value_kind:     by_value
      - .offset:         160
        .size:           8
        .value_kind:     by_value
      - .offset:         168
        .size:           8
        .value_kind:     by_value
      - .offset:         176
        .size:           4
        .value_kind:     hidden_block_count_x
      - .offset:         180
        .size:           4
        .value_kind:     hidden_block_count_y
      - .offset:         184
        .size:           4
        .value_kind:     hidden_block_count_z
      - .offset:         188
        .size:           2
        .value_kind:     hidden_group_size_x
      - .offset:         190
        .size:           2
        .value_kind:     hidden_group_size_y
      - .offset:         192
        .size:           2
        .value_kind:     hidden_group_size_z
      - .offset:         194
        .size:           2
        .value_kind:     hidden_remainder_x
      - .offset:         196
        .size:           2
        .value_kind:     hidden_remainder_y
      - .offset:         198
        .size:           2
        .value_kind:     hidden_remainder_z
      - .offset:         216
        .size:           8
        .value_kind:     hidden_global_offset_x
      - .offset:         224
        .size:           8
        .value_kind:     hidden_global_offset_y
      - .offset:         232
        .size:           8
        .value_kind:     hidden_global_offset_z
      - .offset:         240
        .size:           2
        .value_kind:     hidden_grid_dims
    .group_segment_fixed_size: 0
    .kernarg_segment_align: 8
    .kernarg_segment_size: 432
    .language:       OpenCL C
    .language_version:
      - 2
      - 0
    .max_flat_workgroup_size: 1024
    .name:           _ZN9rocsolver6v33100L11gemm_kernelIdldPdS2_PKS2_EEvT0_S5_S5_T1_bT2_lS5_S5_lbT3_lS5_S5_lS6_T4_lS5_S5_l
    .private_segment_fixed_size: 0
    .sgpr_count:     34
    .sgpr_spill_count: 0
    .symbol:         _ZN9rocsolver6v33100L11gemm_kernelIdldPdS2_PKS2_EEvT0_S5_S5_T1_bT2_lS5_S5_lbT3_lS5_S5_lS6_T4_lS5_S5_l.kd
    .uniform_work_group_size: 1
    .uses_dynamic_stack: false
    .vgpr_count:     14
    .vgpr_spill_count: 0
    .wavefront_size: 32
amdhsa.target:   amdgcn-amd-amdhsa--gfx1250
amdhsa.version:
  - 1
  - 2
...

	.end_amdgpu_metadata
